;; amdgpu-corpus repo=ROCm/rocFFT kind=compiled arch=gfx1030 opt=O3
	.text
	.amdgcn_target "amdgcn-amd-amdhsa--gfx1030"
	.amdhsa_code_object_version 6
	.protected	fft_rtc_back_len1248_factors_2_2_13_2_3_2_2_wgs_52_tpt_52_halfLds_sp_op_CI_CI_unitstride_sbrr_C2R_dirReg ; -- Begin function fft_rtc_back_len1248_factors_2_2_13_2_3_2_2_wgs_52_tpt_52_halfLds_sp_op_CI_CI_unitstride_sbrr_C2R_dirReg
	.globl	fft_rtc_back_len1248_factors_2_2_13_2_3_2_2_wgs_52_tpt_52_halfLds_sp_op_CI_CI_unitstride_sbrr_C2R_dirReg
	.p2align	8
	.type	fft_rtc_back_len1248_factors_2_2_13_2_3_2_2_wgs_52_tpt_52_halfLds_sp_op_CI_CI_unitstride_sbrr_C2R_dirReg,@function
fft_rtc_back_len1248_factors_2_2_13_2_3_2_2_wgs_52_tpt_52_halfLds_sp_op_CI_CI_unitstride_sbrr_C2R_dirReg: ; @fft_rtc_back_len1248_factors_2_2_13_2_3_2_2_wgs_52_tpt_52_halfLds_sp_op_CI_CI_unitstride_sbrr_C2R_dirReg
; %bb.0:
	s_clause 0x2
	s_load_dwordx4 s[12:15], s[4:5], 0x0
	s_load_dwordx4 s[8:11], s[4:5], 0x58
	;; [unrolled: 1-line block ×3, first 2 shown]
	v_mul_u32_u24_e32 v1, 0x4ed, v0
	v_mov_b32_e32 v3, 0
	v_add_nc_u32_sdwa v5, s6, v1 dst_sel:DWORD dst_unused:UNUSED_PAD src0_sel:DWORD src1_sel:WORD_1
	v_mov_b32_e32 v1, 0
	v_mov_b32_e32 v6, v3
	v_mov_b32_e32 v2, 0
	s_waitcnt lgkmcnt(0)
	v_cmp_lt_u64_e64 s0, s[14:15], 2
	s_and_b32 vcc_lo, exec_lo, s0
	s_cbranch_vccnz .LBB0_8
; %bb.1:
	s_load_dwordx2 s[0:1], s[4:5], 0x10
	v_mov_b32_e32 v1, 0
	v_mov_b32_e32 v2, 0
	s_add_u32 s2, s18, 8
	s_addc_u32 s3, s19, 0
	s_add_u32 s6, s16, 8
	s_addc_u32 s7, s17, 0
	v_mov_b32_e32 v73, v2
	v_mov_b32_e32 v72, v1
	s_mov_b64 s[22:23], 1
	s_waitcnt lgkmcnt(0)
	s_add_u32 s20, s0, 8
	s_addc_u32 s21, s1, 0
.LBB0_2:                                ; =>This Inner Loop Header: Depth=1
	s_load_dwordx2 s[24:25], s[20:21], 0x0
                                        ; implicit-def: $vgpr76_vgpr77
	s_mov_b32 s0, exec_lo
	s_waitcnt lgkmcnt(0)
	v_or_b32_e32 v4, s25, v6
	v_cmpx_ne_u64_e32 0, v[3:4]
	s_xor_b32 s1, exec_lo, s0
	s_cbranch_execz .LBB0_4
; %bb.3:                                ;   in Loop: Header=BB0_2 Depth=1
	v_cvt_f32_u32_e32 v4, s24
	v_cvt_f32_u32_e32 v7, s25
	s_sub_u32 s0, 0, s24
	s_subb_u32 s26, 0, s25
	v_fmac_f32_e32 v4, 0x4f800000, v7
	v_rcp_f32_e32 v4, v4
	v_mul_f32_e32 v4, 0x5f7ffffc, v4
	v_mul_f32_e32 v7, 0x2f800000, v4
	v_trunc_f32_e32 v7, v7
	v_fmac_f32_e32 v4, 0xcf800000, v7
	v_cvt_u32_f32_e32 v7, v7
	v_cvt_u32_f32_e32 v4, v4
	v_mul_lo_u32 v8, s0, v7
	v_mul_hi_u32 v9, s0, v4
	v_mul_lo_u32 v10, s26, v4
	v_add_nc_u32_e32 v8, v9, v8
	v_mul_lo_u32 v9, s0, v4
	v_add_nc_u32_e32 v8, v8, v10
	v_mul_hi_u32 v10, v4, v9
	v_mul_lo_u32 v11, v4, v8
	v_mul_hi_u32 v12, v4, v8
	v_mul_hi_u32 v13, v7, v9
	v_mul_lo_u32 v9, v7, v9
	v_mul_hi_u32 v14, v7, v8
	v_mul_lo_u32 v8, v7, v8
	v_add_co_u32 v10, vcc_lo, v10, v11
	v_add_co_ci_u32_e32 v11, vcc_lo, 0, v12, vcc_lo
	v_add_co_u32 v9, vcc_lo, v10, v9
	v_add_co_ci_u32_e32 v9, vcc_lo, v11, v13, vcc_lo
	v_add_co_ci_u32_e32 v10, vcc_lo, 0, v14, vcc_lo
	v_add_co_u32 v8, vcc_lo, v9, v8
	v_add_co_ci_u32_e32 v9, vcc_lo, 0, v10, vcc_lo
	v_add_co_u32 v4, vcc_lo, v4, v8
	v_add_co_ci_u32_e32 v7, vcc_lo, v7, v9, vcc_lo
	v_mul_hi_u32 v8, s0, v4
	v_mul_lo_u32 v10, s26, v4
	v_mul_lo_u32 v9, s0, v7
	v_add_nc_u32_e32 v8, v8, v9
	v_mul_lo_u32 v9, s0, v4
	v_add_nc_u32_e32 v8, v8, v10
	v_mul_hi_u32 v10, v4, v9
	v_mul_lo_u32 v11, v4, v8
	v_mul_hi_u32 v12, v4, v8
	v_mul_hi_u32 v13, v7, v9
	v_mul_lo_u32 v9, v7, v9
	v_mul_hi_u32 v14, v7, v8
	v_mul_lo_u32 v8, v7, v8
	v_add_co_u32 v10, vcc_lo, v10, v11
	v_add_co_ci_u32_e32 v11, vcc_lo, 0, v12, vcc_lo
	v_add_co_u32 v9, vcc_lo, v10, v9
	v_add_co_ci_u32_e32 v9, vcc_lo, v11, v13, vcc_lo
	v_add_co_ci_u32_e32 v10, vcc_lo, 0, v14, vcc_lo
	v_add_co_u32 v8, vcc_lo, v9, v8
	v_add_co_ci_u32_e32 v9, vcc_lo, 0, v10, vcc_lo
	v_add_co_u32 v4, vcc_lo, v4, v8
	v_add_co_ci_u32_e32 v11, vcc_lo, v7, v9, vcc_lo
	v_mul_hi_u32 v13, v5, v4
	v_mad_u64_u32 v[9:10], null, v6, v4, 0
	v_mad_u64_u32 v[7:8], null, v5, v11, 0
	;; [unrolled: 1-line block ×3, first 2 shown]
	v_add_co_u32 v4, vcc_lo, v13, v7
	v_add_co_ci_u32_e32 v7, vcc_lo, 0, v8, vcc_lo
	v_add_co_u32 v4, vcc_lo, v4, v9
	v_add_co_ci_u32_e32 v4, vcc_lo, v7, v10, vcc_lo
	v_add_co_ci_u32_e32 v7, vcc_lo, 0, v12, vcc_lo
	v_add_co_u32 v4, vcc_lo, v4, v11
	v_add_co_ci_u32_e32 v9, vcc_lo, 0, v7, vcc_lo
	v_mul_lo_u32 v10, s25, v4
	v_mad_u64_u32 v[7:8], null, s24, v4, 0
	v_mul_lo_u32 v11, s24, v9
	v_sub_co_u32 v7, vcc_lo, v5, v7
	v_add3_u32 v8, v8, v11, v10
	v_sub_nc_u32_e32 v10, v6, v8
	v_subrev_co_ci_u32_e64 v10, s0, s25, v10, vcc_lo
	v_add_co_u32 v11, s0, v4, 2
	v_add_co_ci_u32_e64 v12, s0, 0, v9, s0
	v_sub_co_u32 v13, s0, v7, s24
	v_sub_co_ci_u32_e32 v8, vcc_lo, v6, v8, vcc_lo
	v_subrev_co_ci_u32_e64 v10, s0, 0, v10, s0
	v_cmp_le_u32_e32 vcc_lo, s24, v13
	v_cmp_eq_u32_e64 s0, s25, v8
	v_cndmask_b32_e64 v13, 0, -1, vcc_lo
	v_cmp_le_u32_e32 vcc_lo, s25, v10
	v_cndmask_b32_e64 v14, 0, -1, vcc_lo
	v_cmp_le_u32_e32 vcc_lo, s24, v7
	;; [unrolled: 2-line block ×3, first 2 shown]
	v_cndmask_b32_e64 v15, 0, -1, vcc_lo
	v_cmp_eq_u32_e32 vcc_lo, s25, v10
	v_cndmask_b32_e64 v7, v15, v7, s0
	v_cndmask_b32_e32 v10, v14, v13, vcc_lo
	v_add_co_u32 v13, vcc_lo, v4, 1
	v_add_co_ci_u32_e32 v14, vcc_lo, 0, v9, vcc_lo
	v_cmp_ne_u32_e32 vcc_lo, 0, v10
	v_cndmask_b32_e32 v8, v14, v12, vcc_lo
	v_cndmask_b32_e32 v10, v13, v11, vcc_lo
	v_cmp_ne_u32_e32 vcc_lo, 0, v7
	v_cndmask_b32_e32 v77, v9, v8, vcc_lo
	v_cndmask_b32_e32 v76, v4, v10, vcc_lo
.LBB0_4:                                ;   in Loop: Header=BB0_2 Depth=1
	s_andn2_saveexec_b32 s0, s1
	s_cbranch_execz .LBB0_6
; %bb.5:                                ;   in Loop: Header=BB0_2 Depth=1
	v_cvt_f32_u32_e32 v4, s24
	s_sub_i32 s1, 0, s24
	v_mov_b32_e32 v77, v3
	v_rcp_iflag_f32_e32 v4, v4
	v_mul_f32_e32 v4, 0x4f7ffffe, v4
	v_cvt_u32_f32_e32 v4, v4
	v_mul_lo_u32 v7, s1, v4
	v_mul_hi_u32 v7, v4, v7
	v_add_nc_u32_e32 v4, v4, v7
	v_mul_hi_u32 v4, v5, v4
	v_mul_lo_u32 v7, v4, s24
	v_add_nc_u32_e32 v8, 1, v4
	v_sub_nc_u32_e32 v7, v5, v7
	v_subrev_nc_u32_e32 v9, s24, v7
	v_cmp_le_u32_e32 vcc_lo, s24, v7
	v_cndmask_b32_e32 v7, v7, v9, vcc_lo
	v_cndmask_b32_e32 v4, v4, v8, vcc_lo
	v_cmp_le_u32_e32 vcc_lo, s24, v7
	v_add_nc_u32_e32 v8, 1, v4
	v_cndmask_b32_e32 v76, v4, v8, vcc_lo
.LBB0_6:                                ;   in Loop: Header=BB0_2 Depth=1
	s_or_b32 exec_lo, exec_lo, s0
	v_mul_lo_u32 v4, v77, s24
	v_mul_lo_u32 v9, v76, s25
	s_load_dwordx2 s[0:1], s[6:7], 0x0
	v_mad_u64_u32 v[7:8], null, v76, s24, 0
	s_load_dwordx2 s[24:25], s[2:3], 0x0
	s_add_u32 s22, s22, 1
	s_addc_u32 s23, s23, 0
	s_add_u32 s2, s2, 8
	s_addc_u32 s3, s3, 0
	s_add_u32 s6, s6, 8
	v_add3_u32 v4, v8, v9, v4
	v_sub_co_u32 v5, vcc_lo, v5, v7
	s_addc_u32 s7, s7, 0
	s_add_u32 s20, s20, 8
	v_sub_co_ci_u32_e32 v4, vcc_lo, v6, v4, vcc_lo
	s_addc_u32 s21, s21, 0
	s_waitcnt lgkmcnt(0)
	v_mul_lo_u32 v6, s0, v4
	v_mul_lo_u32 v7, s1, v5
	v_mad_u64_u32 v[1:2], null, s0, v5, v[1:2]
	v_mul_lo_u32 v4, s24, v4
	v_mul_lo_u32 v8, s25, v5
	v_mad_u64_u32 v[72:73], null, s24, v5, v[72:73]
	v_cmp_ge_u64_e64 s0, s[22:23], s[14:15]
	v_add3_u32 v2, v7, v2, v6
	v_add3_u32 v73, v8, v73, v4
	s_and_b32 vcc_lo, exec_lo, s0
	s_cbranch_vccnz .LBB0_9
; %bb.7:                                ;   in Loop: Header=BB0_2 Depth=1
	v_mov_b32_e32 v5, v76
	v_mov_b32_e32 v6, v77
	s_branch .LBB0_2
.LBB0_8:
	v_mov_b32_e32 v73, v2
	v_mov_b32_e32 v77, v6
	;; [unrolled: 1-line block ×4, first 2 shown]
.LBB0_9:
	s_load_dwordx2 s[0:1], s[4:5], 0x28
	v_mul_hi_u32 v5, 0x4ec4ec5, v0
	s_lshl_b64 s[4:5], s[14:15], 3
                                        ; implicit-def: $vgpr74
                                        ; implicit-def: $vgpr3_vgpr4
	s_add_u32 s2, s18, s4
	s_addc_u32 s3, s19, s5
	s_waitcnt lgkmcnt(0)
	v_cmp_gt_u64_e32 vcc_lo, s[0:1], v[76:77]
	v_cmp_le_u64_e64 s0, s[0:1], v[76:77]
	s_and_saveexec_b32 s1, s0
	s_xor_b32 s0, exec_lo, s1
; %bb.10:
	v_mul_u32_u24_e32 v1, 52, v5
	v_mov_b32_e32 v75, 0
                                        ; implicit-def: $vgpr5
	v_sub_nc_u32_e32 v74, v0, v1
                                        ; implicit-def: $vgpr0
                                        ; implicit-def: $vgpr1_vgpr2
	v_mov_b32_e32 v3, v74
	v_mov_b32_e32 v4, v75
; %bb.11:
	s_or_saveexec_b32 s1, s0
	s_load_dwordx2 s[2:3], s[2:3], 0x0
	s_xor_b32 exec_lo, exec_lo, s1
	s_cbranch_execz .LBB0_15
; %bb.12:
	s_add_u32 s4, s16, s4
	s_addc_u32 s5, s17, s5
	v_mul_u32_u24_e32 v5, 52, v5
	s_load_dwordx2 s[4:5], s[4:5], 0x0
	v_lshlrev_b64 v[1:2], 3, v[1:2]
	v_mov_b32_e32 v75, 0
	v_sub_nc_u32_e32 v74, v0, v5
	v_lshlrev_b32_e32 v54, 3, v74
	s_waitcnt lgkmcnt(0)
	v_mul_lo_u32 v6, s5, v76
	v_mul_lo_u32 v7, s4, v77
	v_mad_u64_u32 v[3:4], null, s4, v76, 0
	s_mov_b32 s4, exec_lo
	v_add3_u32 v4, v4, v7, v6
	v_lshlrev_b64 v[3:4], 3, v[3:4]
	v_add_co_u32 v0, s0, s8, v3
	v_add_co_ci_u32_e64 v3, s0, s9, v4, s0
	v_or_b32_e32 v4, 0x1a00, v54
	v_add_co_u32 v0, s0, v0, v1
	v_add_co_ci_u32_e64 v1, s0, v3, v2, s0
	v_add_co_u32 v2, s0, v0, v54
	v_add_co_ci_u32_e64 v3, s0, 0, v1, s0
	;; [unrolled: 2-line block ×7, first 2 shown]
	s_clause 0x17
	global_load_dwordx2 v[6:7], v[2:3], off
	global_load_dwordx2 v[8:9], v[2:3], off offset:416
	global_load_dwordx2 v[10:11], v[2:3], off offset:832
	;; [unrolled: 1-line block ×17, first 2 shown]
	global_load_dwordx2 v[46:47], v[4:5], off
	global_load_dwordx2 v[18:19], v[18:19], off offset:1760
	global_load_dwordx2 v[48:49], v[20:21], off offset:128
	;; [unrolled: 1-line block ×5, first 2 shown]
	v_add_nc_u32_e32 v2, 0, v54
	v_mov_b32_e32 v3, v74
	v_mov_b32_e32 v4, v75
	v_add_nc_u32_e32 v5, 0x400, v2
	v_add_nc_u32_e32 v54, 0x800, v2
	v_add_nc_u32_e32 v55, 0x1000, v2
	v_add_nc_u32_e32 v56, 0x1400, v2
	v_add_nc_u32_e32 v57, 0x1800, v2
	v_add_nc_u32_e32 v58, 0x2000, v2
	s_waitcnt vmcnt(22)
	ds_write2_b64 v2, v[6:7], v[8:9] offset1:52
	s_waitcnt vmcnt(20)
	ds_write2_b64 v2, v[10:11], v[12:13] offset0:104 offset1:156
	s_waitcnt vmcnt(18)
	ds_write2_b64 v5, v[22:23], v[24:25] offset0:80 offset1:132
	;; [unrolled: 2-line block ×11, first 2 shown]
	v_cmpx_eq_u32_e32 51, v74
	s_cbranch_execz .LBB0_14
; %bb.13:
	v_add_co_u32 v0, s0, 0x2000, v0
	v_add_co_ci_u32_e64 v1, s0, 0, v1, s0
	v_mov_b32_e32 v3, 51
	v_mov_b32_e32 v4, 0
	;; [unrolled: 1-line block ×3, first 2 shown]
	global_load_dwordx2 v[0:1], v[0:1], off offset:1792
	s_waitcnt vmcnt(0)
	ds_write_b64 v75, v[0:1] offset:9984
.LBB0_14:
	s_or_b32 exec_lo, exec_lo, s4
.LBB0_15:
	s_or_b32 exec_lo, exec_lo, s1
	v_lshlrev_b32_e32 v0, 3, v74
	s_waitcnt lgkmcnt(0)
	s_barrier
	buffer_gl0_inv
	v_lshlrev_b64 v[82:83], 3, v[3:4]
	v_add_nc_u32_e32 v89, 0, v0
	v_sub_nc_u32_e32 v2, 0, v0
	s_add_u32 s1, s12, 0x26f0
	s_addc_u32 s4, s13, 0
	s_mov_b32 s5, exec_lo
	ds_read_b32 v5, v89
	ds_read_b32 v6, v2 offset:9984
	s_waitcnt lgkmcnt(0)
	v_add_f32_e32 v0, v6, v5
	v_sub_f32_e32 v1, v5, v6
	v_cmpx_ne_u32_e32 0, v74
	s_xor_b32 s5, exec_lo, s5
	s_cbranch_execz .LBB0_17
; %bb.16:
	v_add_co_u32 v0, s0, s1, v82
	v_add_co_ci_u32_e64 v1, s0, s4, v83, s0
	v_add_f32_e32 v7, v6, v5
	v_sub_f32_e32 v8, v5, v6
	global_load_dwordx2 v[3:4], v[0:1], off
	ds_read_b32 v0, v2 offset:9988
	ds_read_b32 v1, v89 offset:4
	s_waitcnt lgkmcnt(0)
	v_add_f32_e32 v9, v0, v1
	v_sub_f32_e32 v0, v1, v0
	s_waitcnt vmcnt(0)
	v_fma_f32 v5, -v8, v4, v7
	v_fma_f32 v6, v9, v4, -v0
	v_fma_f32 v10, v8, v4, v7
	v_fma_f32 v1, v9, v4, v0
	v_fmac_f32_e32 v5, v3, v9
	v_fmac_f32_e32 v6, v8, v3
	v_fma_f32 v0, -v3, v9, v10
	v_fmac_f32_e32 v1, v8, v3
	ds_write_b64 v2, v[5:6] offset:9984
.LBB0_17:
	s_andn2_saveexec_b32 s0, s5
	s_cbranch_execz .LBB0_19
; %bb.18:
	v_mov_b32_e32 v5, 0
	ds_read_b64 v[3:4], v5 offset:4992
	s_waitcnt lgkmcnt(0)
	v_add_f32_e32 v3, v3, v3
	v_mul_f32_e32 v4, -2.0, v4
	ds_write_b64 v5, v[3:4] offset:4992
.LBB0_19:
	s_or_b32 exec_lo, exec_lo, s0
	v_mov_b32_e32 v75, 0
	v_add_nc_u32_e32 v98, 52, v74
	v_add_nc_u32_e32 v97, 0x68, v74
	;; [unrolled: 1-line block ×4, first 2 shown]
	v_lshlrev_b64 v[80:81], 3, v[74:75]
	v_lshl_add_u32 v58, v74, 4, 0
	v_add_nc_u32_e32 v91, 0x104, v74
	v_add_nc_u32_e32 v90, 0x138, v74
	;; [unrolled: 1-line block ×4, first 2 shown]
	v_add_co_u32 v3, s0, s1, v80
	v_add_co_ci_u32_e64 v4, s0, s4, v81, s0
	v_add_nc_u32_e32 v94, 0x1d4, v74
	v_add_co_u32 v13, s0, 0x800, v3
	s_clause 0x3
	global_load_dwordx2 v[5:6], v[3:4], off offset:416
	global_load_dwordx2 v[7:8], v[3:4], off offset:832
	;; [unrolled: 1-line block ×4, first 2 shown]
	v_add_co_ci_u32_e64 v14, s0, 0, v4, s0
	v_add_co_u32 v3, s0, 0x1000, v3
	s_clause 0x2
	global_load_dwordx2 v[15:16], v[13:14], off offset:32
	global_load_dwordx2 v[17:18], v[13:14], off offset:448
	;; [unrolled: 1-line block ×3, first 2 shown]
	ds_write_b64 v89, v[0:1]
	ds_read_b64 v[0:1], v89 offset:416
	ds_read_b64 v[21:22], v2 offset:9568
	global_load_dwordx2 v[23:24], v[13:14], off offset:1280
	v_add_co_ci_u32_e64 v4, s0, 0, v4, s0
	v_add_nc_u32_e32 v95, 0x208, v74
	v_add_nc_u32_e32 v93, 0x23c, v74
	v_lshl_add_u32 v59, v98, 4, 0
	v_lshl_add_u32 v60, v97, 4, 0
	;; [unrolled: 1-line block ×10, first 2 shown]
	v_lshlrev_b32_e32 v78, 1, v74
	v_lshlrev_b32_e32 v84, 1, v98
	v_cmp_gt_u32_e64 s0, 44, v74
	s_waitcnt lgkmcnt(0)
	v_add_f32_e32 v25, v0, v21
	v_add_f32_e32 v26, v22, v1
	v_sub_f32_e32 v27, v0, v21
	v_sub_f32_e32 v0, v1, v22
	s_waitcnt vmcnt(7)
	v_fma_f32 v28, v27, v6, v25
	v_fma_f32 v1, v26, v6, v0
	v_fma_f32 v21, -v27, v6, v25
	v_fma_f32 v22, v26, v6, -v0
	v_fma_f32 v0, -v5, v26, v28
	v_fmac_f32_e32 v1, v27, v5
	v_fmac_f32_e32 v21, v5, v26
	v_fmac_f32_e32 v22, v27, v5
	ds_write_b64 v89, v[0:1] offset:416
	ds_write_b64 v2, v[21:22] offset:9568
	ds_read_b64 v[0:1], v89 offset:832
	ds_read_b64 v[5:6], v2 offset:9152
	global_load_dwordx2 v[13:14], v[13:14], off offset:1696
	s_waitcnt lgkmcnt(0)
	v_add_f32_e32 v21, v0, v5
	v_add_f32_e32 v22, v6, v1
	v_sub_f32_e32 v25, v0, v5
	v_sub_f32_e32 v0, v1, v6
	s_waitcnt vmcnt(7)
	v_fma_f32 v26, v25, v8, v21
	v_fma_f32 v1, v22, v8, v0
	v_fma_f32 v5, -v25, v8, v21
	v_fma_f32 v6, v22, v8, -v0
	v_fma_f32 v0, -v7, v22, v26
	v_fmac_f32_e32 v1, v25, v7
	v_fmac_f32_e32 v5, v7, v22
	v_fmac_f32_e32 v6, v25, v7
	ds_write_b64 v89, v[0:1] offset:832
	ds_write_b64 v2, v[5:6] offset:9152
	ds_read_b64 v[0:1], v89 offset:1248
	ds_read_b64 v[5:6], v2 offset:8736
	global_load_dwordx2 v[7:8], v[3:4], off offset:64
	;; [unrolled: 19-line block ×3, first 2 shown]
	v_add_nc_u32_e32 v22, 0x1000, v89
	v_add_nc_u32_e32 v25, 0x800, v89
	s_waitcnt lgkmcnt(0)
	v_add_f32_e32 v3, v0, v5
	v_add_f32_e32 v21, v6, v1
	v_sub_f32_e32 v5, v0, v5
	v_sub_f32_e32 v0, v1, v6
	s_waitcnt vmcnt(7)
	v_fma_f32 v6, v5, v12, v3
	v_fma_f32 v1, v21, v12, v0
	v_fma_f32 v3, -v5, v12, v3
	v_fma_f32 v4, v21, v12, -v0
	v_fma_f32 v0, -v11, v21, v6
	v_fmac_f32_e32 v1, v5, v11
	v_fmac_f32_e32 v3, v11, v21
	v_fmac_f32_e32 v4, v5, v11
	ds_write_b64 v89, v[0:1] offset:1664
	ds_write_b64 v2, v[3:4] offset:8320
	ds_read_b64 v[0:1], v89 offset:2080
	ds_read_b64 v[3:4], v2 offset:7904
	s_waitcnt lgkmcnt(0)
	v_add_f32_e32 v5, v0, v3
	v_add_f32_e32 v6, v4, v1
	v_sub_f32_e32 v11, v0, v3
	v_sub_f32_e32 v0, v1, v4
	s_waitcnt vmcnt(6)
	v_fma_f32 v12, v11, v16, v5
	v_fma_f32 v1, v6, v16, v0
	v_fma_f32 v3, -v11, v16, v5
	v_fma_f32 v4, v6, v16, -v0
	v_fma_f32 v0, -v15, v6, v12
	v_fmac_f32_e32 v1, v11, v15
	v_fmac_f32_e32 v3, v15, v6
	v_fmac_f32_e32 v4, v11, v15
	ds_write_b64 v89, v[0:1] offset:2080
	ds_write_b64 v2, v[3:4] offset:7904
	ds_read_b64 v[0:1], v89 offset:2496
	ds_read_b64 v[3:4], v2 offset:7488
	;; [unrolled: 18-line block ×4, first 2 shown]
	s_waitcnt lgkmcnt(0)
	v_add_f32_e32 v5, v0, v3
	v_add_f32_e32 v6, v4, v1
	v_sub_f32_e32 v11, v0, v3
	v_sub_f32_e32 v0, v1, v4
	s_waitcnt vmcnt(3)
	v_fma_f32 v12, v11, v24, v5
	v_fma_f32 v1, v6, v24, v0
	v_fma_f32 v3, -v11, v24, v5
	v_fma_f32 v4, v6, v24, -v0
	v_add_nc_u32_e32 v24, 0x400, v89
	v_fma_f32 v0, -v23, v6, v12
	v_fmac_f32_e32 v1, v11, v23
	v_fmac_f32_e32 v3, v23, v6
	;; [unrolled: 1-line block ×3, first 2 shown]
	ds_write_b64 v89, v[0:1] offset:3328
	ds_write_b64 v2, v[3:4] offset:6656
	ds_read_b64 v[0:1], v89 offset:3744
	ds_read_b64 v[3:4], v2 offset:6240
	v_add_nc_u32_e32 v23, 0x1800, v89
	s_waitcnt lgkmcnt(0)
	v_add_f32_e32 v5, v0, v3
	v_add_f32_e32 v6, v4, v1
	v_sub_f32_e32 v11, v0, v3
	v_sub_f32_e32 v0, v1, v4
	s_waitcnt vmcnt(2)
	v_fma_f32 v12, v11, v14, v5
	v_fma_f32 v1, v6, v14, v0
	v_fma_f32 v3, -v11, v14, v5
	v_fma_f32 v4, v6, v14, -v0
	v_fma_f32 v0, -v13, v6, v12
	v_fmac_f32_e32 v1, v11, v13
	v_fmac_f32_e32 v3, v13, v6
	v_fmac_f32_e32 v4, v11, v13
	ds_write_b64 v89, v[0:1] offset:3744
	ds_write_b64 v2, v[3:4] offset:6240
	ds_read_b64 v[0:1], v89 offset:4160
	ds_read_b64 v[3:4], v2 offset:5824
	s_waitcnt lgkmcnt(0)
	v_add_f32_e32 v5, v0, v3
	v_add_f32_e32 v6, v4, v1
	v_sub_f32_e32 v11, v0, v3
	v_sub_f32_e32 v0, v1, v4
	s_waitcnt vmcnt(1)
	v_fma_f32 v12, v11, v8, v5
	v_fma_f32 v1, v6, v8, v0
	v_fma_f32 v3, -v11, v8, v5
	v_fma_f32 v4, v6, v8, -v0
	v_fma_f32 v0, -v7, v6, v12
	v_fmac_f32_e32 v1, v11, v7
	v_fmac_f32_e32 v3, v7, v6
	;; [unrolled: 1-line block ×3, first 2 shown]
	ds_write_b64 v89, v[0:1] offset:4160
	ds_write_b64 v2, v[3:4] offset:5824
	ds_read_b64 v[3:4], v89 offset:4576
	ds_read_b64 v[5:6], v2 offset:5408
	v_add_nc_u32_e32 v0, 0x1400, v89
	v_add_nc_u32_e32 v1, 0x2000, v89
	s_waitcnt lgkmcnt(0)
	v_add_f32_e32 v7, v3, v5
	v_add_f32_e32 v8, v6, v4
	v_sub_f32_e32 v11, v3, v5
	v_sub_f32_e32 v4, v4, v6
	v_and_b32_e32 v3, 1, v74
	s_waitcnt vmcnt(0)
	v_fma_f32 v12, v11, v10, v7
	v_fma_f32 v5, v8, v10, v4
	v_fma_f32 v6, -v11, v10, v7
	v_fma_f32 v7, v8, v10, -v4
	v_lshlrev_b32_e32 v69, 3, v3
	v_fma_f32 v4, -v9, v8, v12
	v_fmac_f32_e32 v5, v11, v9
	v_fmac_f32_e32 v6, v9, v8
	;; [unrolled: 1-line block ×3, first 2 shown]
	ds_write_b64 v89, v[4:5] offset:4576
	ds_write_b64 v2, v[6:7] offset:5408
	s_waitcnt lgkmcnt(0)
	s_barrier
	buffer_gl0_inv
	s_barrier
	buffer_gl0_inv
	ds_read2_b64 v[4:7], v89 offset1:52
	ds_read2_b64 v[8:11], v22 offset0:112 offset1:164
	ds_read2_b64 v[12:15], v89 offset0:104 offset1:156
	;; [unrolled: 1-line block ×11, first 2 shown]
	v_lshl_add_u32 v2, v75, 4, 0
	s_waitcnt lgkmcnt(0)
	s_barrier
	buffer_gl0_inv
	v_sub_f32_e32 v8, v4, v8
	v_sub_f32_e32 v9, v5, v9
	;; [unrolled: 1-line block ×24, first 2 shown]
	v_fma_f32 v4, v4, 2.0, -v8
	v_fma_f32 v5, v5, 2.0, -v9
	;; [unrolled: 1-line block ×24, first 2 shown]
	ds_write2_b64 v58, v[4:5], v[8:9] offset1:1
	ds_write2_b64 v59, v[6:7], v[10:11] offset1:1
	;; [unrolled: 1-line block ×12, first 2 shown]
	s_waitcnt lgkmcnt(0)
	s_barrier
	buffer_gl0_inv
	global_load_dwordx2 v[55:56], v69, s[12:13]
	v_and_or_b32 v2, 0x7c, v78, v3
	v_lshlrev_b32_e32 v4, 1, v97
	v_lshlrev_b32_e32 v5, 1, v96
	;; [unrolled: 1-line block ×10, first 2 shown]
	v_lshl_add_u32 v63, v2, 3, 0
	v_and_or_b32 v2, 0xfc, v84, v3
	v_and_or_b32 v4, 0x1fc, v4, v3
	;; [unrolled: 1-line block ×11, first 2 shown]
	v_lshl_add_u32 v64, v2, 3, 0
	v_lshl_add_u32 v65, v4, 3, 0
	;; [unrolled: 1-line block ×3, first 2 shown]
	ds_read2_b64 v[2:5], v22 offset0:112 offset1:164
	v_lshl_add_u32 v67, v6, 3, 0
	v_lshl_add_u32 v68, v7, 3, 0
	;; [unrolled: 1-line block ×4, first 2 shown]
	ds_read2_b64 v[6:9], v0 offset0:88 offset1:140
	v_lshl_add_u32 v71, v10, 3, 0
	v_lshl_add_u32 v85, v11, 3, 0
	;; [unrolled: 1-line block ×4, first 2 shown]
	ds_read2_b64 v[10:13], v23 offset0:64 offset1:116
	ds_read2_b64 v[27:30], v89 offset1:52
	ds_read2_b64 v[14:17], v23 offset0:168 offset1:220
	ds_read2_b64 v[18:21], v1 offset0:16 offset1:68
	;; [unrolled: 1-line block ×8, first 2 shown]
	v_add_nc_u32_e32 v26, 0x1c00, v89
	s_waitcnt vmcnt(0) lgkmcnt(0)
	s_barrier
	buffer_gl0_inv
	v_mul_f32_e32 v0, v56, v3
	v_mul_f32_e32 v1, v56, v2
	;; [unrolled: 1-line block ×24, first 2 shown]
	v_fmac_f32_e32 v0, v55, v2
	v_fma_f32 v1, v55, v3, -v1
	v_fmac_f32_e32 v57, v55, v4
	v_fma_f32 v2, v55, v5, -v58
	;; [unrolled: 2-line block ×12, first 2 shown]
	v_sub_f32_e32 v31, v27, v0
	v_sub_f32_e32 v32, v28, v1
	;; [unrolled: 1-line block ×24, first 2 shown]
	v_fma_f32 v27, v27, 2.0, -v31
	v_fma_f32 v28, v28, 2.0, -v32
	;; [unrolled: 1-line block ×24, first 2 shown]
	ds_write2_b64 v63, v[27:28], v[31:32] offset1:2
	ds_write2_b64 v64, v[29:30], v[33:34] offset1:2
	;; [unrolled: 1-line block ×12, first 2 shown]
	s_waitcnt lgkmcnt(0)
	s_barrier
	buffer_gl0_inv
	ds_read2_b64 v[48:51], v89 offset1:96
	ds_read2_b64 v[64:67], v25 offset0:128 offset1:224
	ds_read_b64 v[87:88], v89 offset:9216
	ds_read2_b64 v[68:71], v24 offset0:64 offset1:160
	ds_read2_b64 v[60:63], v22 offset0:64 offset1:160
	ds_read2_b64 v[56:59], v23 offset1:96
	ds_read2_b64 v[52:55], v26 offset0:64 offset1:160
                                        ; implicit-def: $vgpr86
	s_and_saveexec_b32 s1, s0
	s_cbranch_execz .LBB0_21
; %bb.20:
	v_add_nc_u32_e32 v8, 0xc00, v89
	ds_read2_b64 v[0:3], v89 offset0:52 offset1:148
	ds_read2_b64 v[16:19], v24 offset0:116 offset1:212
	;; [unrolled: 1-line block ×6, first 2 shown]
	ds_read_b64 v[85:86], v89 offset:9632
.LBB0_21:
	s_or_b32 exec_lo, exec_lo, s1
	v_and_b32_e32 v99, 3, v74
	v_mul_u32_u24_e32 v24, 12, v99
	v_lshlrev_b32_e32 v44, 3, v24
	s_clause 0x5
	global_load_dwordx4 v[36:39], v44, s[12:13] offset:16
	global_load_dwordx4 v[32:35], v44, s[12:13] offset:32
	;; [unrolled: 1-line block ×6, first 2 shown]
	s_waitcnt vmcnt(0) lgkmcnt(0)
	s_barrier
	buffer_gl0_inv
	v_mul_f32_e32 v111, v37, v51
	v_mul_f32_e32 v112, v37, v50
	;; [unrolled: 1-line block ×10, first 2 shown]
	v_fmac_f32_e32 v109, v32, v70
	v_fmac_f32_e32 v111, v36, v50
	v_fma_f32 v70, v36, v51, -v112
	v_fma_f32 v50, v88, v46, -v123
	v_mul_f32_e32 v110, v39, v69
	v_mul_f32_e32 v108, v35, v65
	v_mul_f32_e32 v116, v25, v66
	v_mul_f32_e32 v120, v58, v41
	v_mul_f32_e32 v121, v52, v43
	v_mul_f32_e32 v104, v55, v45
	v_fma_f32 v69, v38, v69, -v113
	v_fmac_f32_e32 v102, v58, v40
	v_fmac_f32_e32 v103, v52, v42
	;; [unrolled: 1-line block ×3, first 2 shown]
	v_fma_f32 v52, v55, v44, -v122
	v_sub_f32_e32 v58, v70, v50
	v_add_f32_e32 v55, v70, v50
	v_add_f32_e32 v70, v70, v49
	v_mul_f32_e32 v115, v35, v64
	v_mul_f32_e32 v107, v25, v67
	v_fmac_f32_e32 v110, v38, v68
	v_fma_f32 v68, v32, v71, -v114
	v_fmac_f32_e32 v108, v34, v64
	v_fma_f32 v64, v24, v67, -v116
	v_fma_f32 v51, v53, v42, -v121
	v_fmac_f32_e32 v104, v54, v44
	v_add_f32_e32 v54, v111, v105
	v_sub_f32_e32 v53, v111, v105
	v_add_f32_e32 v67, v111, v48
	v_sub_f32_e32 v71, v69, v52
	v_add_f32_e32 v111, v69, v52
	v_mul_f32_e32 v123, 0xbeedf032, v58
	v_mul_f32_e32 v124, 0x3f62ad3f, v55
	v_mul_f32_e32 v125, 0xbf52af12, v58
	v_mul_f32_e32 v126, 0x3f116cb1, v55
	v_mul_f32_e32 v127, 0xbf7e222b, v58
	v_mul_f32_e32 v128, 0x3df6dbef, v55
	v_mul_f32_e32 v129, 0xbf6f5d39, v58
	v_mul_f32_e32 v130, 0xbeb58ec6, v55
	v_mul_f32_e32 v131, 0xbf29c268, v58
	v_mul_f32_e32 v132, 0xbf3f9e67, v55
	v_mul_f32_e32 v58, 0xbe750f2a, v58
	v_mul_f32_e32 v55, 0xbf788fa5, v55
	v_add_f32_e32 v69, v70, v69
	v_mul_f32_e32 v101, v29, v63
	v_mul_f32_e32 v106, v31, v57
	v_fma_f32 v65, v34, v65, -v115
	v_sub_f32_e32 v114, v68, v51
	v_add_f32_e32 v116, v68, v51
	v_fmamk_f32 v172, v54, 0x3f62ad3f, v123
	v_fmamk_f32 v173, v53, 0x3eedf032, v124
	v_fma_f32 v123, 0x3f62ad3f, v54, -v123
	v_fmac_f32_e32 v124, 0xbeedf032, v53
	v_fmamk_f32 v174, v54, 0x3f116cb1, v125
	v_fma_f32 v125, 0x3f116cb1, v54, -v125
	v_fmamk_f32 v175, v54, 0x3df6dbef, v127
	v_fma_f32 v127, 0x3df6dbef, v54, -v127
	;; [unrolled: 2-line block ×5, first 2 shown]
	v_fmamk_f32 v58, v53, 0x3f52af12, v126
	v_fmac_f32_e32 v126, 0xbf52af12, v53
	v_fmamk_f32 v179, v53, 0x3f7e222b, v128
	v_fmac_f32_e32 v128, 0xbf7e222b, v53
	;; [unrolled: 2-line block ×5, first 2 shown]
	v_add_f32_e32 v68, v69, v68
	v_mul_f32_e32 v100, v27, v61
	v_mul_f32_e32 v117, v27, v60
	;; [unrolled: 1-line block ×4, first 2 shown]
	v_fmac_f32_e32 v101, v28, v62
	v_fmac_f32_e32 v106, v30, v56
	v_fma_f32 v56, v59, v40, -v120
	v_add_f32_e32 v59, v110, v104
	v_sub_f32_e32 v62, v110, v104
	v_mul_f32_e32 v133, 0xbf52af12, v71
	v_mul_f32_e32 v134, 0xbf6f5d39, v71
	;; [unrolled: 1-line block ×6, first 2 shown]
	v_add_f32_e32 v67, v67, v110
	v_mul_f32_e32 v70, 0x3f116cb1, v111
	v_mul_f32_e32 v110, 0xbeb58ec6, v111
	;; [unrolled: 1-line block ×6, first 2 shown]
	v_add_f32_e32 v173, v173, v49
	v_add_f32_e32 v124, v124, v49
	;; [unrolled: 1-line block ×13, first 2 shown]
	v_fmac_f32_e32 v100, v26, v60
	v_fma_f32 v61, v26, v61, -v117
	v_fma_f32 v60, v28, v63, -v118
	v_sub_f32_e32 v88, v109, v103
	v_sub_f32_e32 v117, v65, v56
	v_add_f32_e32 v118, v65, v56
	v_mul_f32_e32 v146, 0x3df6dbef, v116
	v_mul_f32_e32 v147, 0xbf788fa5, v116
	;; [unrolled: 1-line block ×6, first 2 shown]
	v_fmamk_f32 v53, v59, 0x3f116cb1, v133
	v_fma_f32 v133, 0x3f116cb1, v59, -v133
	v_fmamk_f32 v183, v59, 0xbeb58ec6, v134
	v_fma_f32 v134, 0xbeb58ec6, v59, -v134
	;; [unrolled: 2-line block ×6, first 2 shown]
	v_fmamk_f32 v71, v62, 0x3f52af12, v70
	v_fmamk_f32 v192, v62, 0xbeedf032, v111
	v_fmac_f32_e32 v111, 0x3eedf032, v62
	v_add_f32_e32 v55, v55, v64
	v_add_f32_e32 v87, v109, v103
	;; [unrolled: 1-line block ×3, first 2 shown]
	v_sub_f32_e32 v115, v108, v102
	v_mul_f32_e32 v141, 0xbf7e222b, v114
	v_mul_f32_e32 v142, 0xbe750f2a, v114
	;; [unrolled: 1-line block ×18, first 2 shown]
	v_fmamk_f32 v69, v88, 0x3f7e222b, v146
	v_fmamk_f32 v200, v88, 0x3f29c268, v116
	v_fmac_f32_e32 v116, 0xbf29c268, v88
	v_add_f32_e32 v172, v172, v48
	v_add_f32_e32 v123, v123, v48
	v_add_f32_e32 v174, v174, v48
	v_add_f32_e32 v125, v125, v48
	v_add_f32_e32 v175, v175, v48
	v_add_f32_e32 v127, v127, v48
	v_add_f32_e32 v176, v176, v48
	v_add_f32_e32 v129, v129, v48
	v_add_f32_e32 v177, v177, v48
	v_add_f32_e32 v131, v131, v48
	v_add_f32_e32 v178, v178, v48
	v_add_f32_e32 v48, v54, v48
	v_add_f32_e32 v65, v71, v173
	v_add_f32_e32 v49, v111, v49
	v_add_f32_e32 v55, v55, v61
	v_fma_f32 v57, v30, v57, -v119
	v_fmac_f32_e32 v70, 0xbf52af12, v62
	v_fmamk_f32 v188, v62, 0x3f6f5d39, v110
	v_fmac_f32_e32 v110, 0xbf6f5d39, v62
	v_fmamk_f32 v189, v62, 0x3e750f2a, v138
	;; [unrolled: 2-line block ×5, first 2 shown]
	v_fma_f32 v141, 0x3df6dbef, v87, -v141
	v_fmamk_f32 v193, v87, 0xbf788fa5, v142
	v_fma_f32 v142, 0xbf788fa5, v87, -v142
	v_fmamk_f32 v194, v87, 0xbeb58ec6, v143
	;; [unrolled: 2-line block ×5, first 2 shown]
	v_fma_f32 v87, 0xbf3f9e67, v87, -v114
	v_add_f32_e32 v67, v67, v109
	v_fmac_f32_e32 v146, 0xbf7e222b, v88
	v_fmamk_f32 v109, v88, 0x3e750f2a, v147
	v_fmac_f32_e32 v147, 0xbe750f2a, v88
	v_fmamk_f32 v114, v88, 0xbf6f5d39, v148
	;; [unrolled: 2-line block ×5, first 2 shown]
	v_fma_f32 v151, 0xbeb58ec6, v113, -v151
	v_fmamk_f32 v201, v113, 0xbf3f9e67, v152
	v_fma_f32 v152, 0xbf3f9e67, v113, -v152
	v_fmamk_f32 v202, v113, 0x3f62ad3f, v153
	;; [unrolled: 2-line block ×6, first 2 shown]
	v_fmamk_f32 v210, v115, 0xbf52af12, v118
	v_fmac_f32_e32 v118, 0x3f52af12, v115
	v_add_f32_e32 v48, v59, v48
	v_add_f32_e32 v59, v69, v65
	v_add_f32_e32 v49, v116, v49
	v_add_f32_e32 v55, v55, v60
	v_fmac_f32_e32 v107, v24, v66
	v_add_f32_e32 v54, v67, v108
	v_add_f32_e32 v59, v117, v59
	;; [unrolled: 1-line block ×5, first 2 shown]
	v_sub_f32_e32 v120, v64, v57
	v_add_f32_e32 v53, v53, v172
	v_add_f32_e32 v67, v133, v123
	;; [unrolled: 1-line block ×15, first 2 shown]
	v_sub_f32_e32 v66, v61, v60
	v_add_f32_e32 v112, v107, v106
	v_sub_f32_e32 v121, v107, v106
	v_mul_f32_e32 v161, 0xbf29c268, v120
	v_mul_f32_e32 v162, 0xbf3f9e67, v119
	;; [unrolled: 1-line block ×10, first 2 shown]
	v_fmac_f32_e32 v156, 0xbf6f5d39, v115
	v_fmamk_f32 v206, v115, 0xbf29c268, v157
	v_fmac_f32_e32 v157, 0x3f29c268, v115
	v_fmamk_f32 v207, v115, 0xbeedf032, v158
	v_fmac_f32_e32 v158, 0x3eedf032, v115
	v_add_f32_e32 v58, v188, v58
	v_add_f32_e32 v126, v185, v176
	;; [unrolled: 1-line block ×20, first 2 shown]
	v_mul_f32_e32 v169, 0x3eedf032, v120
	v_mul_f32_e32 v120, 0xbf6f5d39, v120
	;; [unrolled: 1-line block ×3, first 2 shown]
	v_fmamk_f32 v208, v115, 0x3f7e222b, v159
	v_fmac_f32_e32 v159, 0xbf7e222b, v115
	v_fmamk_f32 v209, v115, 0xbe750f2a, v160
	v_fmac_f32_e32 v160, 0x3e750f2a, v115
	v_fmamk_f32 v115, v112, 0xbf3f9e67, v161
	v_fmamk_f32 v211, v121, 0x3f29c268, v162
	;; [unrolled: 1-line block ×5, first 2 shown]
	v_fmac_f32_e32 v166, 0xbf52af12, v121
	v_fmamk_f32 v216, v112, 0xbf788fa5, v167
	v_fma_f32 v167, 0xbf788fa5, v112, -v167
	v_fmamk_f32 v221, v121, 0x3f6f5d39, v119
	v_add_f32_e32 v58, v109, v58
	v_add_f32_e32 v108, v195, v126
	;; [unrolled: 1-line block ×20, first 2 shown]
	v_fma_f32 v161, 0xbf3f9e67, v112, -v161
	v_fmac_f32_e32 v162, 0xbf29c268, v121
	v_fmamk_f32 v213, v121, 0xbf7e222b, v164
	v_fma_f32 v163, 0x3df6dbef, v112, -v163
	v_fmac_f32_e32 v164, 0x3f7e222b, v121
	v_fma_f32 v165, 0x3f116cb1, v112, -v165
	v_fmamk_f32 v217, v121, 0xbe750f2a, v168
	v_fmac_f32_e32 v168, 0x3e750f2a, v121
	v_fmamk_f32 v218, v112, 0x3f62ad3f, v169
	v_add_f32_e32 v87, v203, v108
	v_add_f32_e32 v88, v208, v109
	v_add_f32_e32 v108, v159, v111
	v_add_f32_e32 v109, v204, v114
	v_add_f32_e32 v113, v113, v48
	v_add_f32_e32 v48, v54, v106
	v_add_f32_e32 v53, v115, v53
	v_add_f32_e32 v54, v211, v59
	v_add_f32_e32 v59, v212, v64
	v_add_f32_e32 v64, v214, v68
	v_add_f32_e32 v68, v166, v71
	v_add_f32_e32 v71, v167, v107
	v_add_f32_e32 v107, v221, v61
	v_add_f32_e32 v49, v49, v50
	v_fma_f32 v50, 0xbeb58ec6, v112, -v120
	v_fmamk_f32 v51, v122, 0xbf788fa5, v171
	v_sub_f32_e32 v100, v100, v101
	v_mul_f32_e32 v56, 0xbf788fa5, v63
	v_mul_f32_e32 v61, 0x3eedf032, v66
	v_add_f32_e32 v58, v206, v58
	v_add_f32_e32 v55, v161, v60
	;; [unrolled: 1-line block ×13, first 2 shown]
	v_fmamk_f32 v51, v100, 0x3e750f2a, v56
	v_fma_f32 v52, 0xbf788fa5, v122, -v171
	v_mul_f32_e32 v108, 0x3f62ad3f, v63
	v_fmamk_f32 v109, v122, 0x3f62ad3f, v61
	v_add_f32_e32 v133, v191, v181
	v_fmac_f32_e32 v56, 0xbe750f2a, v100
	v_add_f32_e32 v58, v213, v58
	v_add_f32_e32 v51, v51, v54
	;; [unrolled: 1-line block ×3, first 2 shown]
	v_fmamk_f32 v55, v100, 0xbeedf032, v108
	v_add_f32_e32 v54, v109, v59
	v_mul_f32_e32 v59, 0xbf29c268, v66
	v_fmac_f32_e32 v108, 0x3eedf032, v100
	v_add_f32_e32 v131, v137, v131
	v_add_f32_e32 v123, v199, v133
	;; [unrolled: 1-line block ×3, first 2 shown]
	v_fma_f32 v56, 0x3f62ad3f, v122, -v61
	v_mul_f32_e32 v61, 0xbf3f9e67, v63
	v_add_f32_e32 v55, v55, v58
	v_fmamk_f32 v58, v122, 0xbf3f9e67, v59
	v_add_f32_e32 v57, v108, v62
	v_mul_f32_e32 v62, 0x3f52af12, v66
	v_fmamk_f32 v219, v121, 0xbeedf032, v170
	v_add_f32_e32 v124, v145, v131
	v_add_f32_e32 v110, v209, v123
	;; [unrolled: 1-line block ×3, first 2 shown]
	v_fmamk_f32 v60, v100, 0x3f29c268, v61
	v_fma_f32 v108, 0xbf3f9e67, v122, -v59
	v_add_f32_e32 v58, v58, v64
	v_fmamk_f32 v64, v122, 0x3f116cb1, v62
	v_fma_f32 v62, 0x3f116cb1, v122, -v62
	v_fma_f32 v169, 0x3f62ad3f, v112, -v169
	v_add_f32_e32 v134, v187, v178
	v_add_f32_e32 v111, v155, v124
	;; [unrolled: 1-line block ×6, first 2 shown]
	v_mul_f32_e32 v108, 0x3f116cb1, v63
	v_mul_f32_e32 v110, 0xbeb58ec6, v63
	v_add_f32_e32 v132, v140, v132
	v_add_f32_e32 v67, v62, v71
	v_lshrrev_b32_e32 v71, 2, v74
	v_add_f32_e32 v126, v197, v134
	v_add_f32_e32 v48, v48, v103
	;; [unrolled: 1-line block ×3, first 2 shown]
	v_mul_f32_e32 v109, 0xbf6f5d39, v66
	v_fmamk_f32 v65, v100, 0xbf52af12, v108
	v_fmamk_f32 v111, v100, 0x3f6f5d39, v110
	v_add_f32_e32 v125, v150, v132
	v_fmac_f32_e32 v61, 0xbf29c268, v100
	v_fmac_f32_e32 v108, 0x3f52af12, v100
	v_mul_f32_e32 v66, 0x3f7e222b, v66
	v_mul_u32_u24_e32 v71, 52, v71
	v_fmamk_f32 v220, v112, 0xbeb58ec6, v120
	v_add_f32_e32 v116, v205, v126
	v_add_f32_e32 v48, v48, v104
	v_fmac_f32_e32 v119, 0xbf6f5d39, v121
	v_add_f32_e32 v64, v64, v69
	v_fmamk_f32 v69, v122, 0xbeb58ec6, v109
	v_add_f32_e32 v65, v65, v70
	v_add_f32_e32 v70, v111, v102
	v_mul_f32_e32 v102, 0x3df6dbef, v63
	v_fmac_f32_e32 v170, 0x3eedf032, v121
	v_add_f32_e32 v114, v160, v125
	v_add_f32_e32 v61, v61, v68
	;; [unrolled: 1-line block ×3, first 2 shown]
	v_fmamk_f32 v87, v122, 0x3df6dbef, v66
	v_fma_f32 v66, 0x3df6dbef, v122, -v66
	v_or_b32_e32 v71, v71, v99
	v_add_f32_e32 v106, v220, v116
	v_add_f32_e32 v48, v48, v105
	;; [unrolled: 1-line block ×4, first 2 shown]
	v_fmamk_f32 v88, v100, 0xbf7e222b, v102
	v_fmac_f32_e32 v102, 0x3f7e222b, v100
	v_add_f32_e32 v104, v170, v114
	v_fma_f32 v62, 0xbeb58ec6, v122, -v109
	v_fmac_f32_e32 v110, 0xbf6f5d39, v100
	v_add_f32_e32 v100, v66, v101
	v_lshl_add_u32 v66, v71, 3, 0
	v_add_f32_e32 v87, v87, v106
	v_add_f32_e32 v88, v88, v107
	;; [unrolled: 1-line block ×5, first 2 shown]
	ds_write2_b64 v66, v[48:49], v[50:51] offset1:4
	ds_write2_b64 v66, v[54:55], v[58:59] offset0:8 offset1:12
	ds_write2_b64 v66, v[64:65], v[69:70] offset0:16 offset1:20
	ds_write2_b64 v66, v[87:88], v[100:101] offset0:24 offset1:28
	ds_write2_b64 v66, v[62:63], v[67:68] offset0:32 offset1:36
	ds_write2_b64 v66, v[60:61], v[56:57] offset0:40 offset1:44
	ds_write_b64 v66, v[52:53] offset:384
	s_and_saveexec_b32 s1, s0
	s_cbranch_execz .LBB0_23
; %bb.22:
	v_mul_f32_e32 v49, v3, v37
	v_mul_f32_e32 v48, v86, v47
	;; [unrolled: 1-line block ×5, first 2 shown]
	v_fmac_f32_e32 v49, v2, v36
	v_fmac_f32_e32 v48, v85, v46
	v_mul_f32_e32 v37, v23, v45
	v_fma_f32 v46, v86, v46, -v50
	v_fma_f32 v50, v3, v36, -v51
	v_mul_f32_e32 v2, v22, v45
	v_mul_f32_e32 v3, v16, v39
	v_sub_f32_e32 v36, v49, v48
	v_fmac_f32_e32 v47, v16, v38
	v_fmac_f32_e32 v37, v22, v44
	v_mul_f32_e32 v39, v19, v33
	v_mul_f32_e32 v22, v21, v43
	v_fma_f32 v23, v23, v44, -v2
	v_fma_f32 v38, v17, v38, -v3
	v_mul_f32_e32 v2, v20, v43
	v_mul_f32_e32 v3, v18, v33
	v_add_f32_e32 v45, v50, v46
	v_mul_f32_e32 v51, 0xbf6f5d39, v36
	v_sub_f32_e32 v16, v47, v37
	v_fmac_f32_e32 v39, v18, v32
	v_fmac_f32_e32 v22, v20, v42
	v_fma_f32 v20, v21, v42, -v2
	v_fma_f32 v33, v19, v32, -v3
	v_mul_f32_e32 v21, v9, v35
	v_mul_f32_e32 v19, v15, v41
	v_fmamk_f32 v52, v45, 0xbeb58ec6, v51
	v_mul_f32_e32 v43, 0x3f29c268, v16
	v_add_f32_e32 v44, v38, v23
	v_sub_f32_e32 v17, v39, v22
	v_fmac_f32_e32 v21, v8, v34
	v_fmac_f32_e32 v19, v14, v40
	v_mul_f32_e32 v18, v14, v41
	v_mul_f32_e32 v8, v8, v35
	;; [unrolled: 1-line block ×4, first 2 shown]
	v_add_f32_e32 v2, v1, v52
	v_fmamk_f32 v3, v44, 0xbf3f9e67, v43
	v_mul_f32_e32 v42, 0x3eedf032, v17
	v_add_f32_e32 v52, v33, v20
	v_sub_f32_e32 v14, v21, v19
	v_fma_f32 v35, v15, v40, -v18
	v_fma_f32 v34, v9, v34, -v8
	v_fmac_f32_e32 v41, v10, v24
	v_fmac_f32_e32 v32, v12, v30
	v_mul_f32_e32 v9, v12, v31
	v_mul_f32_e32 v10, v10, v25
	v_add_f32_e32 v2, v3, v2
	v_fmamk_f32 v3, v52, 0x3f62ad3f, v42
	v_mul_f32_e32 v31, 0xbf7e222b, v14
	v_add_f32_e32 v40, v34, v35
	v_sub_f32_e32 v8, v41, v32
	v_fma_f32 v53, v13, v30, -v9
	v_fma_f32 v54, v11, v24, -v10
	v_add_f32_e32 v2, v3, v2
	v_fmamk_f32 v3, v40, 0x3df6dbef, v31
	v_mul_f32_e32 v24, 0x3e750f2a, v8
	v_mul_f32_e32 v56, v5, v27
	v_add_f32_e32 v55, v54, v53
	v_mul_f32_e32 v57, v7, v29
	v_add_f32_e32 v2, v3, v2
	v_sub_f32_e32 v58, v50, v46
	v_fmac_f32_e32 v56, v4, v26
	v_fmamk_f32 v3, v55, 0xbf788fa5, v24
	v_fmac_f32_e32 v57, v6, v28
	v_add_f32_e32 v10, v49, v48
	v_mul_f32_e32 v30, 0xbf6f5d39, v58
	v_sub_f32_e32 v59, v38, v23
	v_add_f32_e32 v2, v3, v2
	v_mul_f32_e32 v3, v6, v29
	v_mul_f32_e32 v4, v4, v27
	v_sub_f32_e32 v9, v56, v57
	v_fma_f32 v6, 0xbeb58ec6, v10, -v30
	v_add_f32_e32 v11, v47, v37
	v_mul_f32_e32 v27, 0x3f29c268, v59
	v_fma_f32 v60, v7, v28, -v3
	v_sub_f32_e32 v61, v33, v20
	v_fma_f32 v62, v5, v26, -v4
	v_add_f32_e32 v3, v0, v6
	v_fma_f32 v4, 0xbf3f9e67, v11, -v27
	v_add_f32_e32 v13, v39, v22
	v_mul_f32_e32 v26, 0x3eedf032, v61
	v_mul_f32_e32 v28, 0x3f52af12, v9
	v_sub_f32_e32 v63, v34, v35
	v_add_f32_e32 v64, v62, v60
	v_add_f32_e32 v3, v4, v3
	v_fma_f32 v4, 0x3f62ad3f, v13, -v26
	v_add_f32_e32 v12, v21, v19
	v_mul_f32_e32 v29, 0xbf7e222b, v63
	v_fmamk_f32 v5, v64, 0x3f116cb1, v28
	v_sub_f32_e32 v65, v54, v53
	v_add_f32_e32 v4, v4, v3
	v_add_f32_e32 v15, v41, v32
	v_fma_f32 v6, 0x3df6dbef, v12, -v29
	v_add_f32_e32 v3, v5, v2
	v_mul_f32_e32 v5, 0xbe750f2a, v36
	v_mul_f32_e32 v66, 0x3e750f2a, v65
	v_sub_f32_e32 v67, v62, v60
	v_add_f32_e32 v2, v6, v4
	v_mul_f32_e32 v6, 0x3eedf032, v16
	v_fmamk_f32 v4, v45, 0xbf788fa5, v5
	v_fma_f32 v7, 0xbf788fa5, v15, -v66
	v_add_f32_e32 v18, v56, v57
	v_mul_f32_e32 v68, 0x3f52af12, v67
	v_fmamk_f32 v25, v44, 0x3f62ad3f, v6
	v_add_f32_e32 v4, v1, v4
	v_mul_f32_e32 v69, 0xbf29c268, v17
	v_add_f32_e32 v2, v7, v2
	v_fma_f32 v7, 0x3f116cb1, v18, -v68
	v_mul_f32_e32 v70, 0xbe750f2a, v58
	v_add_f32_e32 v4, v25, v4
	v_fmamk_f32 v25, v52, 0xbf3f9e67, v69
	v_mul_f32_e32 v71, 0x3f52af12, v14
	v_add_f32_e32 v2, v7, v2
	v_fma_f32 v7, 0xbf788fa5, v10, -v70
	v_mul_f32_e32 v85, 0x3eedf032, v59
	v_add_f32_e32 v4, v25, v4
	v_fmamk_f32 v25, v40, 0x3f116cb1, v71
	;; [unrolled: 6-line block ×3, first 2 shown]
	v_mul_f32_e32 v100, 0x3f7e222b, v9
	v_add_f32_e32 v7, v87, v7
	v_fma_f32 v87, 0xbf3f9e67, v13, -v88
	v_mul_f32_e32 v101, 0x3f52af12, v63
	v_fma_f32 v5, 0xbf788fa5, v45, -v5
	v_add_f32_e32 v4, v25, v4
	v_fmamk_f32 v25, v64, 0x3df6dbef, v100
	v_add_f32_e32 v7, v87, v7
	v_fma_f32 v87, 0x3f116cb1, v12, -v101
	v_add_f32_e32 v102, v1, v5
	v_fma_f32 v6, 0x3f62ad3f, v44, -v6
	v_add_f32_e32 v5, v25, v4
	v_mul_f32_e32 v25, 0xbf6f5d39, v65
	v_add_f32_e32 v4, v87, v7
	v_fmac_f32_e32 v70, 0xbf788fa5, v10
	v_add_f32_e32 v6, v6, v102
	v_fma_f32 v7, 0xbf3f9e67, v52, -v69
	v_fma_f32 v69, 0xbeb58ec6, v15, -v25
	v_mul_f32_e32 v87, 0x3f7e222b, v67
	v_add_f32_e32 v70, v0, v70
	v_fmac_f32_e32 v85, 0x3f62ad3f, v11
	v_add_f32_e32 v6, v7, v6
	v_fma_f32 v7, 0x3f116cb1, v40, -v71
	v_add_f32_e32 v4, v69, v4
	v_fma_f32 v69, 0x3df6dbef, v18, -v87
	v_add_f32_e32 v70, v85, v70
	v_fmac_f32_e32 v88, 0xbf3f9e67, v13
	v_add_f32_e32 v6, v7, v6
	v_fma_f32 v7, 0xbeb58ec6, v55, -v86
	v_add_f32_e32 v4, v69, v4
	v_mul_f32_e32 v69, 0xbf3f9e67, v45
	v_add_f32_e32 v70, v88, v70
	v_fmac_f32_e32 v101, 0x3f116cb1, v12
	v_add_f32_e32 v6, v7, v6
	v_fma_f32 v7, 0x3df6dbef, v64, -v100
	v_fmamk_f32 v71, v36, 0x3f29c268, v69
	v_mul_f32_e32 v85, 0x3df6dbef, v44
	v_add_f32_e32 v70, v101, v70
	v_fmac_f32_e32 v25, 0xbeb58ec6, v15
	v_add_f32_e32 v7, v7, v6
	v_add_f32_e32 v6, v1, v71
	v_fmamk_f32 v71, v16, 0xbf7e222b, v85
	v_mul_f32_e32 v86, 0x3f116cb1, v52
	v_add_f32_e32 v25, v25, v70
	v_fmac_f32_e32 v87, 0x3df6dbef, v18
	v_mul_f32_e32 v70, 0xbf29c268, v58
	v_add_f32_e32 v71, v71, v6
	v_fmamk_f32 v88, v17, 0x3f52af12, v86
	v_mul_f32_e32 v100, 0xbf788fa5, v40
	v_add_f32_e32 v6, v87, v25
	v_fmamk_f32 v25, v10, 0xbf3f9e67, v70
	;; [unrolled: 3-line block ×5, first 2 shown]
	v_mul_f32_e32 v104, 0xbeb58ec6, v64
	v_fma_f32 v51, 0xbeb58ec6, v45, -v51
	v_add_f32_e32 v25, v102, v25
	v_fmamk_f32 v102, v13, 0x3f116cb1, v103
	v_mul_f32_e32 v105, 0x3e750f2a, v63
	v_add_f32_e32 v71, v88, v71
	v_fmamk_f32 v88, v9, 0x3f6f5d39, v104
	v_add_f32_e32 v51, v1, v51
	v_fma_f32 v43, 0xbf3f9e67, v44, -v43
	v_fmac_f32_e32 v30, 0xbeb58ec6, v10
	v_add_f32_e32 v102, v102, v25
	v_fmamk_f32 v106, v12, 0xbf788fa5, v105
	v_add_f32_e32 v25, v88, v71
	v_mul_f32_e32 v71, 0x3eedf032, v65
	v_add_f32_e32 v43, v43, v51
	v_fma_f32 v42, 0x3f62ad3f, v52, -v42
	v_add_f32_e32 v30, v0, v30
	v_fmac_f32_e32 v27, 0xbf3f9e67, v11
	v_add_f32_e32 v88, v106, v102
	v_fmamk_f32 v51, v15, 0x3f62ad3f, v71
	v_mul_f32_e32 v102, 0xbf6f5d39, v67
	v_add_f32_e32 v42, v42, v43
	v_fma_f32 v31, 0x3df6dbef, v40, -v31
	v_add_f32_e32 v27, v27, v30
	v_fmac_f32_e32 v26, 0x3f62ad3f, v13
	v_add_f32_e32 v43, v51, v88
	v_fmamk_f32 v51, v18, 0xbeb58ec6, v102
	v_add_f32_e32 v30, v31, v42
	v_fma_f32 v31, 0xbf788fa5, v55, -v24
	v_mul_f32_e32 v42, 0x3df6dbef, v45
	v_add_f32_e32 v26, v26, v27
	v_fmac_f32_e32 v29, 0x3df6dbef, v12
	v_add_f32_e32 v24, v51, v43
	v_add_f32_e32 v27, v31, v30
	v_fmamk_f32 v30, v36, 0x3f7e222b, v42
	v_mul_f32_e32 v43, 0xbf788fa5, v44
	v_add_f32_e32 v26, v29, v26
	v_fmac_f32_e32 v66, 0xbf788fa5, v15
	v_fma_f32 v28, 0x3f116cb1, v64, -v28
	v_add_f32_e32 v29, v1, v30
	v_fmamk_f32 v30, v16, 0x3e750f2a, v43
	v_mul_f32_e32 v51, 0xbeb58ec6, v52
	v_add_f32_e32 v26, v66, v26
	v_mul_f32_e32 v66, 0xbf7e222b, v58
	v_add_f32_e32 v27, v28, v27
	v_add_f32_e32 v28, v30, v29
	v_fmamk_f32 v29, v17, 0xbf6f5d39, v51
	v_mul_f32_e32 v88, 0x3f62ad3f, v40
	v_fmamk_f32 v30, v10, 0x3df6dbef, v66
	v_mul_f32_e32 v106, 0xbe750f2a, v59
	v_fmac_f32_e32 v68, 0x3f116cb1, v18
	v_add_f32_e32 v28, v29, v28
	v_fmamk_f32 v29, v14, 0xbeedf032, v88
	v_mul_f32_e32 v107, 0x3f116cb1, v55
	v_add_f32_e32 v30, v0, v30
	v_fmamk_f32 v31, v11, 0xbf788fa5, v106
	v_mul_f32_e32 v108, 0x3f6f5d39, v61
	v_add_f32_e32 v28, v29, v28
	v_fmamk_f32 v29, v8, 0x3f52af12, v107
	v_add_f32_e32 v26, v68, v26
	v_add_f32_e32 v30, v31, v30
	v_fmamk_f32 v31, v13, 0xbeb58ec6, v108
	v_mul_f32_e32 v68, 0x3eedf032, v63
	v_mul_f32_e32 v109, 0x3f116cb1, v45
	;; [unrolled: 1-line block ×3, first 2 shown]
	v_add_f32_e32 v28, v29, v28
	v_add_f32_e32 v29, v31, v30
	v_fmamk_f32 v30, v12, 0x3f62ad3f, v68
	v_mul_f32_e32 v111, 0xbf52af12, v65
	v_fmamk_f32 v31, v36, 0x3f52af12, v109
	v_mul_f32_e32 v112, 0xbeb58ec6, v44
	v_fmamk_f32 v113, v9, 0x3f29c268, v110
	v_add_f32_e32 v30, v30, v29
	v_fmamk_f32 v114, v15, 0x3f116cb1, v111
	v_add_f32_e32 v31, v1, v31
	v_fmamk_f32 v115, v16, 0x3f6f5d39, v112
	v_mul_f32_e32 v116, 0xbf788fa5, v52
	v_add_f32_e32 v29, v113, v28
	v_mul_f32_e32 v113, 0xbf52af12, v58
	v_add_f32_e32 v28, v114, v30
	v_add_f32_e32 v30, v115, v31
	v_fmamk_f32 v31, v17, 0x3e750f2a, v116
	v_mul_f32_e32 v114, 0xbf3f9e67, v40
	v_fmamk_f32 v117, v10, 0x3f116cb1, v113
	v_mul_f32_e32 v118, 0xbf6f5d39, v59
	v_mul_f32_e32 v119, 0x3df6dbef, v55
	v_add_f32_e32 v30, v31, v30
	v_fmamk_f32 v31, v14, 0xbf29c268, v114
	v_add_f32_e32 v117, v0, v117
	v_fmamk_f32 v120, v11, 0xbeb58ec6, v118
	v_mul_f32_e32 v121, 0xbe750f2a, v61
	v_add_f32_e32 v50, v1, v50
	v_mul_f32_e32 v115, 0xbf29c268, v67
	v_add_f32_e32 v30, v31, v30
	v_fmamk_f32 v31, v8, 0xbf7e222b, v119
	v_add_f32_e32 v117, v120, v117
	v_fmamk_f32 v120, v13, 0xbf788fa5, v121
	v_mul_f32_e32 v123, 0x3f29c268, v63
	v_mul_f32_e32 v45, 0x3f62ad3f, v45
	v_add_f32_e32 v38, v50, v38
	v_add_f32_e32 v49, v0, v49
	v_fmamk_f32 v122, v18, 0xbf3f9e67, v115
	v_add_f32_e32 v30, v31, v30
	v_add_f32_e32 v31, v120, v117
	v_fmamk_f32 v117, v12, 0xbf3f9e67, v123
	v_mul_f32_e32 v120, 0x3f7e222b, v65
	v_fmamk_f32 v124, v36, 0x3eedf032, v45
	v_mul_f32_e32 v44, 0x3f116cb1, v44
	v_mul_f32_e32 v50, 0xbeedf032, v58
	v_add_f32_e32 v33, v38, v33
	v_add_f32_e32 v38, v49, v47
	;; [unrolled: 1-line block ×3, first 2 shown]
	v_mul_f32_e32 v122, 0x3f62ad3f, v64
	v_add_f32_e32 v31, v117, v31
	v_fmamk_f32 v117, v15, 0x3df6dbef, v120
	v_mul_f32_e32 v125, 0x3eedf032, v67
	v_add_f32_e32 v124, v1, v124
	v_fmamk_f32 v126, v16, 0x3f52af12, v44
	v_mul_f32_e32 v52, 0x3df6dbef, v52
	v_fmamk_f32 v47, v10, 0x3f62ad3f, v50
	v_mul_f32_e32 v49, 0xbf52af12, v59
	v_add_f32_e32 v33, v33, v34
	v_add_f32_e32 v34, v38, v39
	v_fmamk_f32 v127, v9, 0xbeedf032, v122
	v_add_f32_e32 v117, v117, v31
	v_fmamk_f32 v128, v18, 0x3f62ad3f, v125
	;; [unrolled: 2-line block ×3, first 2 shown]
	v_mul_f32_e32 v40, 0xbeb58ec6, v40
	v_add_f32_e32 v38, v0, v47
	v_fmamk_f32 v39, v11, 0x3f116cb1, v49
	v_mul_f32_e32 v47, 0xbf7e222b, v61
	v_add_f32_e32 v21, v34, v21
	v_add_f32_e32 v31, v127, v30
	;; [unrolled: 1-line block ×4, first 2 shown]
	v_fmamk_f32 v124, v14, 0x3f6f5d39, v40
	v_mul_f32_e32 v55, 0xbf3f9e67, v55
	v_add_f32_e32 v33, v33, v54
	v_add_f32_e32 v34, v39, v38
	v_fmamk_f32 v38, v13, 0x3df6dbef, v47
	v_add_f32_e32 v21, v21, v41
	v_add_f32_e32 v58, v124, v117
	v_fmamk_f32 v117, v8, 0x3f29c268, v55
	v_mul_f32_e32 v54, 0xbf788fa5, v64
	v_add_f32_e32 v33, v33, v62
	v_mul_f32_e32 v39, 0xbf6f5d39, v63
	v_add_f32_e32 v34, v38, v34
	v_add_f32_e32 v38, v21, v56
	;; [unrolled: 1-line block ×3, first 2 shown]
	v_fmamk_f32 v41, v9, 0x3e750f2a, v54
	v_add_f32_e32 v33, v33, v60
	v_fmamk_f32 v56, v12, 0xbeb58ec6, v39
	v_mul_f32_e32 v59, 0xbf29c268, v65
	v_add_f32_e32 v38, v38, v57
	v_add_f32_e32 v21, v41, v58
	;; [unrolled: 1-line block ×4, first 2 shown]
	v_fmamk_f32 v41, v15, 0xbf3f9e67, v59
	v_mul_f32_e32 v53, 0xbe750f2a, v67
	v_add_f32_e32 v32, v38, v32
	v_fmac_f32_e32 v69, 0xbf29c268, v36
	v_add_f32_e32 v33, v33, v35
	v_add_f32_e32 v34, v41, v34
	v_fmamk_f32 v35, v18, 0xbf788fa5, v53
	v_add_f32_e32 v19, v32, v19
	v_add_f32_e32 v32, v1, v69
	v_fmac_f32_e32 v85, 0x3f7e222b, v16
	v_add_f32_e32 v33, v33, v20
	v_add_f32_e32 v20, v35, v34
	v_fma_f32 v34, 0xbf3f9e67, v10, -v70
	v_add_f32_e32 v19, v19, v22
	v_add_f32_e32 v22, v85, v32
	v_fmac_f32_e32 v86, 0xbf52af12, v17
	v_add_f32_e32 v23, v33, v23
	v_add_f32_e32 v32, v0, v34
	v_fma_f32 v33, 0x3df6dbef, v11, -v87
	v_add_f32_e32 v19, v19, v37
	v_add_f32_e32 v34, v86, v22
	v_fmac_f32_e32 v100, 0x3e750f2a, v14
	v_fmac_f32_e32 v42, 0xbf7e222b, v36
	v_add_f32_e32 v32, v33, v32
	v_fma_f32 v33, 0x3f116cb1, v13, -v103
	v_add_f32_e32 v22, v19, v48
	v_add_f32_e32 v19, v100, v34
	v_fmac_f32_e32 v101, 0x3eedf032, v8
	v_add_f32_e32 v34, v1, v42
	v_fmac_f32_e32 v43, 0xbe750f2a, v16
	v_add_f32_e32 v32, v33, v32
	v_fma_f32 v33, 0xbf788fa5, v12, -v105
	v_add_f32_e32 v19, v101, v19
	v_fmac_f32_e32 v104, 0xbf6f5d39, v9
	v_add_f32_e32 v34, v43, v34
	v_fmac_f32_e32 v51, 0x3f6f5d39, v17
	v_add_f32_e32 v32, v33, v32
	v_fma_f32 v35, 0x3f62ad3f, v15, -v71
	v_add_f32_e32 v33, v104, v19
	v_fma_f32 v19, 0x3df6dbef, v10, -v66
	v_add_f32_e32 v34, v51, v34
	v_fmac_f32_e32 v88, 0x3eedf032, v14
	v_add_f32_e32 v32, v35, v32
	v_fma_f32 v35, 0xbeb58ec6, v18, -v102
	v_add_f32_e32 v19, v0, v19
	v_fma_f32 v37, 0xbf788fa5, v11, -v106
	v_add_f32_e32 v34, v88, v34
	v_fmac_f32_e32 v107, 0xbf52af12, v8
	v_add_f32_e32 v32, v35, v32
	v_fma_f32 v35, 0xbeb58ec6, v13, -v108
	v_add_f32_e32 v19, v37, v19
	v_fmac_f32_e32 v110, 0xbf29c268, v9
	v_add_f32_e32 v34, v107, v34
	v_fmac_f32_e32 v109, 0xbf52af12, v36
	v_fmac_f32_e32 v45, 0xbeedf032, v36
	v_add_f32_e32 v19, v35, v19
	v_fmac_f32_e32 v112, 0xbf6f5d39, v16
	v_add_f32_e32 v35, v110, v34
	v_fma_f32 v34, 0x3f116cb1, v10, -v113
	v_fma_f32 v10, 0x3f62ad3f, v10, -v50
	v_add_f32_e32 v37, v1, v109
	v_fma_f32 v41, 0xbeb58ec6, v11, -v118
	v_add_f32_e32 v1, v1, v45
	v_add_f32_e32 v34, v0, v34
	v_fmac_f32_e32 v44, 0xbf52af12, v16
	v_add_f32_e32 v0, v0, v10
	v_fma_f32 v10, 0x3f116cb1, v11, -v49
	v_fma_f32 v38, 0x3f62ad3f, v12, -v68
	v_add_f32_e32 v37, v112, v37
	v_fmac_f32_e32 v116, 0xbe750f2a, v17
	v_fmac_f32_e32 v114, 0x3f29c268, v14
	v_add_f32_e32 v41, v41, v34
	v_fma_f32 v42, 0xbf788fa5, v13, -v121
	v_add_f32_e32 v1, v44, v1
	v_fmac_f32_e32 v52, 0xbf7e222b, v17
	v_add_f32_e32 v0, v10, v0
	v_fma_f32 v10, 0x3df6dbef, v13, -v47
	v_fmac_f32_e32 v40, 0xbf6f5d39, v14
	v_lshrrev_b32_e32 v14, 2, v98
	v_add_f32_e32 v19, v38, v19
	v_fma_f32 v38, 0x3f116cb1, v15, -v111
	v_add_f32_e32 v37, v116, v37
	v_add_f32_e32 v36, v42, v41
	v_fma_f32 v16, 0xbf3f9e67, v12, -v123
	v_add_f32_e32 v1, v52, v1
	v_add_f32_e32 v0, v10, v0
	v_fma_f32 v10, 0xbeb58ec6, v12, -v39
	v_mul_u32_u24_e32 v12, 52, v14
	v_add_f32_e32 v19, v38, v19
	v_fma_f32 v38, 0xbf3f9e67, v18, -v115
	v_add_f32_e32 v37, v114, v37
	v_fmac_f32_e32 v119, 0x3f7e222b, v8
	v_add_f32_e32 v11, v16, v36
	v_fma_f32 v13, 0x3df6dbef, v15, -v120
	v_add_f32_e32 v1, v40, v1
	v_fmac_f32_e32 v55, 0xbf29c268, v8
	v_add_f32_e32 v0, v10, v0
	v_fma_f32 v8, 0xbf3f9e67, v15, -v59
	v_or_b32_e32 v12, v12, v99
	v_add_f32_e32 v23, v23, v46
	v_add_f32_e32 v34, v38, v19
	;; [unrolled: 1-line block ×3, first 2 shown]
	v_fmac_f32_e32 v122, 0x3eedf032, v9
	v_add_f32_e32 v11, v13, v11
	v_fma_f32 v10, 0x3f62ad3f, v18, -v125
	v_add_f32_e32 v13, v55, v1
	v_fmac_f32_e32 v54, 0xbe750f2a, v9
	v_add_f32_e32 v8, v8, v0
	v_fma_f32 v14, 0xbf788fa5, v18, -v53
	v_lshl_add_u32 v12, v12, 3, 0
	v_add_f32_e32 v1, v122, v19
	v_add_f32_e32 v0, v10, v11
	;; [unrolled: 1-line block ×4, first 2 shown]
	ds_write2_b64 v12, v[22:23], v[20:21] offset1:4
	ds_write2_b64 v12, v[30:31], v[28:29] offset0:8 offset1:12
	ds_write2_b64 v12, v[26:27], v[24:25] offset0:16 offset1:20
	;; [unrolled: 1-line block ×5, first 2 shown]
	ds_write_b64 v12, v[8:9] offset:384
.LBB0_23:
	s_or_b32 exec_lo, exec_lo, s1
	v_and_b32_e32 v0, 0xff, v97
	v_and_b32_e32 v1, 0xff, v96
	v_mov_b32_e32 v2, 0x4ec5
	v_mov_b32_e32 v6, 3
	s_waitcnt lgkmcnt(0)
	v_mul_lo_u16 v0, 0x4f, v0
	v_mul_lo_u16 v3, 0x4f, v1
	v_mul_u32_u24_sdwa v71, v92, v2 dst_sel:DWORD dst_unused:UNUSED_PAD src0_sel:WORD_0 src1_sel:DWORD
	v_mul_u32_u24_sdwa v88, v91, v2 dst_sel:DWORD dst_unused:UNUSED_PAD src0_sel:WORD_0 src1_sel:DWORD
	;; [unrolled: 1-line block ×3, first 2 shown]
	v_lshrrev_b16 v4, 12, v0
	v_lshrrev_b16 v3, 12, v3
	v_lshrrev_b32_e32 v5, 20, v71
	v_lshrrev_b32_e32 v7, 20, v88
	;; [unrolled: 1-line block ×3, first 2 shown]
	v_mul_lo_u16 v4, v4, 52
	v_mul_lo_u16 v3, v3, 52
	;; [unrolled: 1-line block ×3, first 2 shown]
	v_add_co_u32 v0, s0, s12, v82
	v_sub_nc_u16 v4, v97, v4
	v_sub_nc_u16 v3, v96, v3
	v_add_co_ci_u32_e64 v1, s0, s13, v83, s0
	s_barrier
	v_lshlrev_b32_sdwa v100, v6, v4 dst_sel:DWORD dst_unused:UNUSED_PAD src0_sel:DWORD src1_sel:BYTE_0
	v_sub_nc_u16 v4, v92, v5
	v_mul_lo_u16 v5, v7, 52
	v_mul_lo_u16 v7, v8, 52
	v_lshlrev_b32_sdwa v101, v6, v3 dst_sel:DWORD dst_unused:UNUSED_PAD src0_sel:DWORD src1_sel:BYTE_0
	v_mul_u32_u24_sdwa v8, v75, v2 dst_sel:DWORD dst_unused:UNUSED_PAD src0_sel:WORD_0 src1_sel:DWORD
	v_lshlrev_b32_sdwa v102, v6, v4 dst_sel:DWORD dst_unused:UNUSED_PAD src0_sel:DWORD src1_sel:WORD_0
	v_sub_nc_u16 v3, v91, v5
	v_sub_nc_u16 v4, v90, v7
	v_mul_u32_u24_sdwa v5, v79, v2 dst_sel:DWORD dst_unused:UNUSED_PAD src0_sel:WORD_0 src1_sel:DWORD
	buffer_gl0_inv
	global_load_dwordx2 v[57:58], v[0:1], off offset:400
	v_lshlrev_b32_sdwa v103, v6, v3 dst_sel:DWORD dst_unused:UNUSED_PAD src0_sel:DWORD src1_sel:WORD_0
	v_lshrrev_b32_e32 v3, 20, v8
	v_lshlrev_b32_sdwa v104, v6, v4 dst_sel:DWORD dst_unused:UNUSED_PAD src0_sel:DWORD src1_sel:WORD_0
	v_lshrrev_b32_e32 v4, 20, v5
	v_mul_u32_u24_sdwa v5, v94, v2 dst_sel:DWORD dst_unused:UNUSED_PAD src0_sel:WORD_0 src1_sel:DWORD
	v_mul_u32_u24_sdwa v7, v95, v2 dst_sel:DWORD dst_unused:UNUSED_PAD src0_sel:WORD_0 src1_sel:DWORD
	;; [unrolled: 1-line block ×3, first 2 shown]
	v_mul_lo_u16 v3, v3, 52
	v_mul_lo_u16 v4, v4, 52
	v_lshrrev_b32_e32 v5, 20, v5
	v_lshrrev_b32_e32 v7, 20, v7
	;; [unrolled: 1-line block ×3, first 2 shown]
	v_sub_nc_u16 v3, v75, v3
	v_sub_nc_u16 v4, v79, v4
	v_mul_lo_u16 v5, v5, 52
	v_mul_lo_u16 v7, v7, 52
	;; [unrolled: 1-line block ×3, first 2 shown]
	v_lshlrev_b32_sdwa v105, v6, v3 dst_sel:DWORD dst_unused:UNUSED_PAD src0_sel:DWORD src1_sel:WORD_0
	v_lshlrev_b32_sdwa v106, v6, v4 dst_sel:DWORD dst_unused:UNUSED_PAD src0_sel:DWORD src1_sel:WORD_0
	v_sub_nc_u16 v3, v94, v5
	v_sub_nc_u16 v4, v95, v7
	;; [unrolled: 1-line block ×3, first 2 shown]
	s_clause 0x6
	global_load_dwordx2 v[59:60], v100, s[12:13] offset:400
	global_load_dwordx2 v[61:62], v101, s[12:13] offset:400
	;; [unrolled: 1-line block ×7, first 2 shown]
	v_lshlrev_b32_sdwa v107, v6, v3 dst_sel:DWORD dst_unused:UNUSED_PAD src0_sel:DWORD src1_sel:WORD_0
	v_lshlrev_b32_sdwa v108, v6, v4 dst_sel:DWORD dst_unused:UNUSED_PAD src0_sel:DWORD src1_sel:WORD_0
	v_lshlrev_b32_sdwa v109, v6, v2 dst_sel:DWORD dst_unused:UNUSED_PAD src0_sel:DWORD src1_sel:WORD_0
	s_clause 0x2
	global_load_dwordx2 v[86:87], v107, s[12:13] offset:400
	global_load_dwordx2 v[93:94], v108, s[12:13] offset:400
	;; [unrolled: 1-line block ×3, first 2 shown]
	v_add_nc_u32_e32 v2, 0x1000, v89
	v_add_nc_u32_e32 v7, 0x1400, v89
	;; [unrolled: 1-line block ×5, first 2 shown]
	ds_read2_b64 v[9:12], v89 offset1:52
	ds_read2_b64 v[13:16], v89 offset0:104 offset1:156
	ds_read2_b64 v[17:20], v2 offset0:112 offset1:164
	;; [unrolled: 1-line block ×8, first 2 shown]
	v_mov_b32_e32 v79, 0
	v_add_nc_u32_e32 v5, 0x2000, v89
	ds_read2_b64 v[45:48], v5 offset0:16 offset1:68
	ds_read2_b64 v[49:52], v2 offset0:8 offset1:60
	;; [unrolled: 1-line block ×3, first 2 shown]
	v_lshlrev_b64 v[97:98], 3, v[78:79]
	v_lshrrev_b32_e32 v78, 21, v88
	v_lshrrev_b32_e32 v88, 21, v99
	v_add_nc_u32_e32 v99, 0, v100
	v_add_nc_u32_e32 v100, 0, v101
	;; [unrolled: 1-line block ×10, first 2 shown]
	s_waitcnt vmcnt(0) lgkmcnt(0)
	s_barrier
	buffer_gl0_inv
	v_lshrrev_b32_e32 v71, 21, v71
	v_add_nc_u32_e32 v99, 0x400, v99
	v_mul_lo_u16 v78, 0x68, v78
	v_add_nc_u32_e32 v100, 0x800, v100
	v_lshrrev_b32_e32 v8, 21, v8
	v_mul_lo_u16 v71, 0x68, v71
	v_mov_b32_e32 v85, v79
	v_add_nc_u32_e32 v101, 0x800, v101
	v_add_nc_u32_e32 v102, 0x1000, v102
	;; [unrolled: 1-line block ×3, first 2 shown]
	v_mul_lo_u16 v8, 0x68, v8
	v_lshlrev_b64 v[84:85], 3, v[84:85]
	v_add_co_u32 v97, s0, s12, v97
	v_add_co_ci_u32_e64 v98, s0, s13, v98, s0
	v_sub_nc_u16 v8, v75, v8
	v_add_co_u32 v84, s0, s12, v84
	v_add_co_ci_u32_e64 v85, s0, s13, v85, s0
	v_mul_f32_e32 v109, v58, v18
	v_mul_f32_e32 v110, v58, v17
	;; [unrolled: 1-line block ×4, first 2 shown]
	v_fmac_f32_e32 v109, v57, v17
	v_fma_f32 v18, v57, v18, -v110
	v_fmac_f32_e32 v111, v57, v19
	v_fma_f32 v20, v57, v20, -v58
	v_add_nc_u32_e32 v57, 0x1400, v104
	v_sub_f32_e32 v17, v9, v109
	v_sub_f32_e32 v18, v10, v18
	;; [unrolled: 1-line block ×4, first 2 shown]
	v_add_nc_u32_e32 v58, 0x1800, v105
	v_fma_f32 v9, v9, 2.0, -v17
	v_fma_f32 v10, v10, 2.0, -v18
	;; [unrolled: 1-line block ×4, first 2 shown]
	ds_write2_b64 v89, v[9:10], v[17:18] offset1:52
	ds_write2_b64 v89, v[11:12], v[19:20] offset0:104 offset1:156
	v_mul_f32_e32 v9, v60, v22
	v_mul_f32_e32 v10, v60, v21
	;; [unrolled: 1-line block ×10, first 2 shown]
	v_add_nc_u32_e32 v104, 0x1800, v106
	v_add_nc_u32_e32 v105, 0x2000, v107
	;; [unrolled: 1-line block ×3, first 2 shown]
	v_mul_f32_e32 v64, v40, v70
	v_mul_f32_e32 v66, v39, v70
	;; [unrolled: 1-line block ×10, first 2 shown]
	v_fmac_f32_e32 v9, v59, v21
	v_fma_f32 v10, v59, v22, -v10
	v_fmac_f32_e32 v11, v23, v61
	v_fma_f32 v12, v24, v61, -v12
	;; [unrolled: 2-line block ×10, first 2 shown]
	v_sub_f32_e32 v9, v13, v9
	v_sub_f32_e32 v10, v14, v10
	;; [unrolled: 1-line block ×20, first 2 shown]
	v_fma_f32 v13, v13, 2.0, -v9
	v_fma_f32 v14, v14, 2.0, -v10
	;; [unrolled: 1-line block ×20, first 2 shown]
	ds_write2_b64 v99, v[13:14], v[9:10] offset0:80 offset1:132
	ds_write2_b64 v100, v[15:16], v[11:12] offset0:56 offset1:108
	;; [unrolled: 1-line block ×10, first 2 shown]
	v_sub_nc_u16 v9, v92, v71
	v_mul_lo_u16 v18, 0x68, v88
	v_sub_nc_u16 v19, v91, v78
	v_and_b32_e32 v38, 0xffff, v8
	s_waitcnt lgkmcnt(0)
	v_and_b32_e32 v34, 0xffff, v9
	v_sub_nc_u16 v9, v90, v18
	v_and_b32_e32 v35, 0xffff, v19
	s_barrier
	buffer_gl0_inv
	v_lshlrev_b32_e32 v18, 4, v34
	v_and_b32_e32 v36, 0xffff, v9
	v_lshlrev_b32_e32 v9, 4, v35
	s_clause 0x2
	global_load_dwordx4 v[10:13], v[97:98], off offset:816
	global_load_dwordx4 v[14:17], v[84:85], off offset:816
	global_load_dwordx4 v[18:21], v18, s[12:13] offset:816
	v_lshlrev_b32_e32 v8, 4, v36
	global_load_dwordx4 v[22:25], v9, s[12:13] offset:816
	v_lshlrev_b32_e32 v9, 4, v38
	s_clause 0x1
	global_load_dwordx4 v[26:29], v8, s[12:13] offset:816
	global_load_dwordx4 v[30:33], v9, s[12:13] offset:816
	v_lshl_add_u32 v75, v34, 3, 0
	v_lshl_add_u32 v78, v35, 3, 0
	;; [unrolled: 1-line block ×3, first 2 shown]
	ds_read2_b64 v[34:37], v4 offset0:160 offset1:212
	v_lshl_add_u32 v96, v38, 3, 0
	ds_read2_b64 v[38:41], v6 offset0:64 offset1:116
	v_add_co_u32 v8, s0, s12, v80
	v_add_co_ci_u32_e64 v9, s0, s13, v81, s0
	ds_read2_b64 v[42:45], v89 offset1:52
	ds_read2_b64 v[46:49], v2 offset0:8 offset1:60
	ds_read2_b64 v[50:53], v89 offset0:104 offset1:156
	;; [unrolled: 1-line block ×9, first 2 shown]
	v_add_co_u32 v70, s0, 0x800, v0
	v_add_co_ci_u32_e64 v71, s0, 0, v1, s0
	v_add_co_u32 v94, s0, 0x800, v8
	v_add_co_ci_u32_e64 v95, s0, 0, v9, s0
	v_add_nc_u32_e32 v97, 0x1000, v75
	v_add_nc_u32_e32 v98, 0x1000, v78
	;; [unrolled: 1-line block ×4, first 2 shown]
	s_waitcnt vmcnt(0) lgkmcnt(0)
	s_barrier
	buffer_gl0_inv
	v_mul_f32_e32 v101, v11, v35
	v_mul_f32_e32 v105, v15, v37
	;; [unrolled: 1-line block ×32, first 2 shown]
	v_fmac_f32_e32 v101, v10, v34
	v_fmac_f32_e32 v105, v14, v36
	v_fma_f32 v36, v14, v37, -v106
	v_fma_f32 v37, v41, v16, -v108
	v_fmac_f32_e32 v109, v46, v10
	v_fmac_f32_e32 v113, v62, v18
	;; [unrolled: 1-line block ×3, first 2 shown]
	v_fma_f32 v34, v10, v35, -v102
	v_fmac_f32_e32 v103, v12, v38
	v_fma_f32 v35, v12, v39, -v104
	v_fmac_f32_e32 v107, v40, v16
	;; [unrolled: 2-line block ×7, first 2 shown]
	v_fma_f32 v41, v69, v24, -v25
	v_fma_f32 v12, v63, v18, -v19
	;; [unrolled: 1-line block ×3, first 2 shown]
	v_fmac_f32_e32 v117, v84, v26
	v_fma_f32 v14, v85, v26, -v27
	v_fmac_f32_e32 v118, v90, v28
	v_fma_f32 v29, v91, v28, -v29
	;; [unrolled: 2-line block ×4, first 2 shown]
	v_add_f32_e32 v16, v42, v101
	v_sub_f32_e32 v48, v36, v37
	v_add_f32_e32 v22, v45, v36
	v_add_f32_e32 v23, v36, v37
	v_add_f32_e32 v24, v50, v109
	v_add_f32_e32 v36, v113, v114
	v_add_f32_e32 v17, v101, v103
	v_add_f32_e32 v19, v34, v35
	v_add_f32_e32 v21, v105, v107
	v_add_f32_e32 v18, v43, v34
	v_add_f32_e32 v25, v109, v110
	v_add_f32_e32 v27, v10, v38
	v_add_f32_e32 v30, v111, v112
	v_add_f32_e32 v32, v11, v39
	v_add_f32_e32 v67, v115, v116
	v_add_f32_e32 v84, v13, v41
	v_add_f32_e32 v20, v44, v105
	v_sub_f32_e32 v54, v10, v38
	v_add_f32_e32 v26, v51, v10
	v_add_f32_e32 v31, v53, v11
	v_sub_f32_e32 v62, v12, v40
	v_add_f32_e32 v64, v12, v40
	v_add_f32_e32 v87, v117, v118
	;; [unrolled: 1-line block ×7, first 2 shown]
	v_fma_f32 v24, -0.5, v36, v58
	v_add_f32_e32 v28, v52, v111
	v_sub_f32_e32 v46, v34, v35
	v_sub_f32_e32 v47, v101, v103
	;; [unrolled: 1-line block ×3, first 2 shown]
	v_add_f32_e32 v34, v58, v113
	v_add_f32_e32 v63, v59, v12
	v_sub_f32_e32 v68, v13, v41
	v_add_f32_e32 v69, v61, v13
	v_fma_f32 v12, -0.5, v17, v42
	v_fma_f32 v13, -0.5, v19, v43
	;; [unrolled: 1-line block ×3, first 2 shown]
	v_fmac_f32_e32 v45, -0.5, v23
	v_sub_f32_e32 v55, v109, v110
	v_sub_f32_e32 v56, v11, v39
	;; [unrolled: 1-line block ×3, first 2 shown]
	v_add_f32_e32 v66, v60, v115
	v_sub_f32_e32 v85, v115, v116
	v_add_f32_e32 v11, v18, v35
	v_fma_f32 v18, -0.5, v25, v50
	v_fma_f32 v19, -0.5, v27, v51
	v_fma_f32 v52, -0.5, v30, v52
	v_fmac_f32_e32 v53, -0.5, v32
	v_fma_f32 v60, -0.5, v67, v60
	v_fmac_f32_e32 v61, -0.5, v84
	v_sub_f32_e32 v65, v113, v114
	v_add_f32_e32 v86, v80, v117
	v_sub_f32_e32 v90, v14, v29
	v_add_f32_e32 v91, v81, v14
	;; [unrolled: 2-line block ×5, first 2 shown]
	v_add_f32_e32 v15, v22, v37
	v_add_f32_e32 v21, v31, v39
	v_fma_f32 v25, -0.5, v64, v59
	v_fma_f32 v30, -0.5, v87, v80
	;; [unrolled: 1-line block ×4, first 2 shown]
	v_fmac_f32_e32 v83, -0.5, v106
	v_fmamk_f32 v42, v62, 0xbf5db3d7, v24
	v_fmac_f32_e32 v24, 0x3f5db3d7, v62
	v_add_co_u32 v62, s0, 0x1000, v8
	v_add_f32_e32 v17, v26, v38
	v_add_f32_e32 v20, v28, v112
	;; [unrolled: 1-line block ×4, first 2 shown]
	v_fmamk_f32 v34, v46, 0xbf5db3d7, v12
	v_fmamk_f32 v35, v47, 0x3f5db3d7, v13
	v_fmamk_f32 v36, v48, 0xbf5db3d7, v44
	v_fmamk_f32 v37, v49, 0x3f5db3d7, v45
	v_add_co_ci_u32_e64 v63, s0, 0, v9, s0
	v_fmac_f32_e32 v12, 0x3f5db3d7, v46
	v_fmac_f32_e32 v13, 0xbf5db3d7, v47
	;; [unrolled: 1-line block ×4, first 2 shown]
	v_add_f32_e32 v27, v69, v41
	v_fmamk_f32 v38, v54, 0xbf5db3d7, v18
	v_fmamk_f32 v39, v55, 0x3f5db3d7, v19
	;; [unrolled: 1-line block ×5, first 2 shown]
	v_fmac_f32_e32 v60, 0x3f5db3d7, v68
	v_fmamk_f32 v47, v85, 0x3f5db3d7, v61
	v_fmac_f32_e32 v61, 0xbf5db3d7, v85
	v_add_f32_e32 v26, v66, v116
	v_add_f32_e32 v28, v86, v118
	;; [unrolled: 1-line block ×5, first 2 shown]
	v_fmac_f32_e32 v18, 0x3f5db3d7, v54
	v_fmac_f32_e32 v19, 0xbf5db3d7, v55
	;; [unrolled: 1-line block ×4, first 2 shown]
	v_fmamk_f32 v43, v65, 0x3f5db3d7, v25
	v_fmac_f32_e32 v25, 0xbf5db3d7, v65
	v_fmamk_f32 v48, v90, 0xbf5db3d7, v30
	v_fmac_f32_e32 v30, 0x3f5db3d7, v90
	;; [unrolled: 2-line block ×5, first 2 shown]
	ds_write2_b64 v89, v[10:11], v[14:15] offset1:52
	ds_write2_b64 v4, v[16:17], v[20:21] offset0:56 offset1:108
	ds_write2_b64 v89, v[34:35], v[36:37] offset0:104 offset1:156
	;; [unrolled: 1-line block ×6, first 2 shown]
	ds_write_b64 v75, v[24:25] offset:6656
	ds_write2_b64 v98, v[26:27], v[46:47] offset0:112 offset1:216
	ds_write_b64 v78, v[60:61] offset:6656
	ds_write2_b64 v99, v[28:29], v[48:49] offset0:40 offset1:144
	;; [unrolled: 2-line block ×3, first 2 shown]
	ds_write_b64 v96, v[82:83] offset:9152
	s_waitcnt lgkmcnt(0)
	s_barrier
	buffer_gl0_inv
	s_clause 0x5
	global_load_dwordx2 v[58:59], v[70:71], off offset:432
	global_load_dwordx2 v[60:61], v[94:95], off offset:848
	;; [unrolled: 1-line block ×6, first 2 shown]
	ds_read2_b64 v[10:13], v2 offset0:112 offset1:164
	ds_read2_b64 v[14:17], v7 offset0:88 offset1:140
	ds_read2_b64 v[18:21], v89 offset1:52
	ds_read2_b64 v[22:25], v6 offset0:64 offset1:116
	ds_read2_b64 v[26:29], v89 offset0:104 offset1:156
	;; [unrolled: 1-line block ×9, first 2 shown]
	v_add_co_u32 v0, s0, 0x1000, v0
	v_add_co_ci_u32_e64 v1, s0, 0, v1, s0
	v_add_co_u32 v80, s0, 0x1800, v8
	v_add_co_ci_u32_e64 v81, s0, 0, v9, s0
	;; [unrolled: 2-line block ×3, first 2 shown]
	s_waitcnt vmcnt(0) lgkmcnt(0)
	s_barrier
	buffer_gl0_inv
	v_mul_f32_e32 v84, v65, v15
	v_mul_f32_e32 v75, v59, v11
	;; [unrolled: 1-line block ×24, first 2 shown]
	v_fmac_f32_e32 v75, v58, v10
	v_fma_f32 v11, v58, v11, -v78
	v_fmac_f32_e32 v82, v60, v12
	v_fma_f32 v13, v60, v13, -v83
	v_fmac_f32_e32 v84, v64, v14
	v_fma_f32 v15, v64, v15, -v85
	v_fmac_f32_e32 v86, v16, v66
	v_fma_f32 v17, v17, v66, -v87
	v_fmac_f32_e32 v88, v22, v68
	v_fma_f32 v23, v23, v68, -v90
	v_fmac_f32_e32 v91, v24, v70
	v_fma_f32 v25, v25, v70, -v92
	v_fmac_f32_e32 v93, v38, v58
	v_fma_f32 v39, v39, v58, -v59
	v_fmac_f32_e32 v94, v40, v60
	v_fma_f32 v41, v41, v60, -v61
	v_fmac_f32_e32 v95, v46, v64
	v_fma_f32 v47, v47, v64, -v65
	v_fmac_f32_e32 v96, v48, v66
	v_fma_f32 v49, v49, v66, -v67
	v_fmac_f32_e32 v97, v54, v68
	v_fma_f32 v55, v55, v68, -v69
	v_fmac_f32_e32 v98, v56, v70
	v_fma_f32 v57, v57, v70, -v71
	v_sub_f32_e32 v10, v18, v75
	v_sub_f32_e32 v11, v19, v11
	;; [unrolled: 1-line block ×24, first 2 shown]
	v_fma_f32 v18, v18, 2.0, -v10
	v_fma_f32 v19, v19, 2.0, -v11
	;; [unrolled: 1-line block ×24, first 2 shown]
	ds_write2_b64 v4, v[10:11], v[12:13] offset0:56 offset1:108
	ds_write2_b64 v4, v[14:15], v[16:17] offset0:160 offset1:212
	;; [unrolled: 1-line block ×6, first 2 shown]
	ds_write2_b64 v89, v[18:19], v[20:21] offset1:52
	ds_write2_b64 v89, v[26:27], v[28:29] offset0:104 offset1:156
	ds_write2_b64 v3, v[30:31], v[32:33] offset0:80 offset1:132
	ds_write2_b64 v2, v[34:35], v[36:37] offset0:112 offset1:164
	ds_write2_b64 v7, v[42:43], v[44:45] offset0:88 offset1:140
	ds_write2_b64 v6, v[50:51], v[52:53] offset0:64 offset1:116
	s_waitcnt lgkmcnt(0)
	s_barrier
	buffer_gl0_inv
	s_clause 0xb
	global_load_dwordx2 v[0:1], v[0:1], off offset:880
	global_load_dwordx2 v[56:57], v[62:63], off offset:1296
	;; [unrolled: 1-line block ×12, first 2 shown]
	ds_read2_b64 v[8:11], v2 offset0:112 offset1:164
	ds_read2_b64 v[12:15], v7 offset0:88 offset1:140
	ds_read2_b64 v[16:19], v89 offset1:52
	ds_read2_b64 v[20:23], v6 offset0:64 offset1:116
	ds_read2_b64 v[24:27], v89 offset0:104 offset1:156
	;; [unrolled: 1-line block ×9, first 2 shown]
	s_waitcnt vmcnt(0) lgkmcnt(0)
	s_barrier
	buffer_gl0_inv
	v_mul_f32_e32 v75, v1, v9
	v_mul_f32_e32 v1, v1, v8
	;; [unrolled: 1-line block ×24, first 2 shown]
	v_fmac_f32_e32 v75, v0, v8
	v_fma_f32 v1, v0, v9, -v1
	v_fmac_f32_e32 v78, v56, v10
	v_fma_f32 v9, v56, v11, -v57
	;; [unrolled: 2-line block ×12, first 2 shown]
	v_sub_f32_e32 v0, v16, v75
	v_sub_f32_e32 v1, v17, v1
	v_sub_f32_e32 v8, v18, v78
	v_sub_f32_e32 v9, v19, v9
	v_sub_f32_e32 v10, v24, v86
	v_sub_f32_e32 v11, v25, v11
	v_sub_f32_e32 v12, v26, v87
	v_sub_f32_e32 v13, v27, v13
	v_sub_f32_e32 v14, v28, v88
	v_sub_f32_e32 v15, v29, v15
	v_sub_f32_e32 v20, v30, v90
	v_sub_f32_e32 v21, v31, v21
	v_sub_f32_e32 v22, v32, v91
	v_sub_f32_e32 v23, v33, v23
	v_sub_f32_e32 v36, v34, v92
	v_sub_f32_e32 v37, v35, v37
	v_sub_f32_e32 v38, v40, v93
	v_sub_f32_e32 v39, v41, v39
	v_sub_f32_e32 v44, v42, v94
	v_sub_f32_e32 v45, v43, v45
	v_sub_f32_e32 v46, v48, v95
	v_sub_f32_e32 v47, v49, v47
	v_sub_f32_e32 v52, v50, v96
	v_sub_f32_e32 v53, v51, v53
	v_fma_f32 v16, v16, 2.0, -v0
	v_fma_f32 v17, v17, 2.0, -v1
	;; [unrolled: 1-line block ×24, first 2 shown]
	ds_write2_b64 v2, v[0:1], v[8:9] offset0:112 offset1:164
	ds_write2_b64 v7, v[10:11], v[12:13] offset0:88 offset1:140
	ds_write2_b64 v6, v[14:15], v[20:21] offset0:64 offset1:116
	ds_write2_b64 v6, v[22:23], v[36:37] offset0:168 offset1:220
	ds_write2_b64 v5, v[38:39], v[44:45] offset0:16 offset1:68
	ds_write2_b64 v5, v[46:47], v[52:53] offset0:120 offset1:172
	ds_write2_b64 v89, v[16:17], v[18:19] offset1:52
	ds_write2_b64 v89, v[24:25], v[26:27] offset0:104 offset1:156
	ds_write2_b64 v3, v[28:29], v[30:31] offset0:80 offset1:132
	;; [unrolled: 1-line block ×5, first 2 shown]
	s_waitcnt lgkmcnt(0)
	s_barrier
	buffer_gl0_inv
	s_and_saveexec_b32 s0, vcc_lo
	s_cbranch_execz .LBB0_25
; %bb.24:
	v_mul_lo_u32 v2, s3, v76
	v_mul_lo_u32 v3, s2, v77
	v_mad_u64_u32 v[0:1], null, s2, v76, 0
	v_lshl_add_u32 v16, v74, 3, 0
	v_mov_b32_e32 v75, v79
	v_lshlrev_b64 v[6:7], 3, v[72:73]
	v_add_nc_u32_e32 v78, 52, v74
	v_add_nc_u32_e32 v17, 0x800, v16
	v_add3_u32 v1, v1, v3, v2
	v_lshlrev_b64 v[8:9], 3, v[74:75]
	v_lshlrev_b64 v[4:5], 3, v[0:1]
	ds_read2_b64 v[0:3], v16 offset1:52
	v_add_co_u32 v10, vcc_lo, s10, v4
	v_add_co_ci_u32_e32 v11, vcc_lo, s11, v5, vcc_lo
	v_lshlrev_b64 v[4:5], 3, v[78:79]
	v_add_co_u32 v20, vcc_lo, v10, v6
	v_add_co_ci_u32_e32 v21, vcc_lo, v11, v7, vcc_lo
	v_add_nc_u32_e32 v78, 0x68, v74
	v_add_co_u32 v8, vcc_lo, v20, v8
	v_add_co_ci_u32_e32 v9, vcc_lo, v21, v9, vcc_lo
	v_add_co_u32 v10, vcc_lo, v20, v4
	v_add_co_ci_u32_e32 v11, vcc_lo, v21, v5, vcc_lo
	ds_read2_b64 v[4:7], v16 offset0:104 offset1:156
	v_lshlrev_b64 v[12:13], 3, v[78:79]
	v_add_nc_u32_e32 v78, 0x9c, v74
	s_waitcnt lgkmcnt(1)
	global_store_dwordx2 v[8:9], v[0:1], off
	global_store_dwordx2 v[10:11], v[2:3], off
	v_add_nc_u32_e32 v10, 0x400, v16
	v_lshlrev_b64 v[0:1], 3, v[78:79]
	v_add_co_u32 v2, vcc_lo, v20, v12
	v_add_co_ci_u32_e32 v3, vcc_lo, v21, v13, vcc_lo
	v_add_nc_u32_e32 v78, 0xd0, v74
	v_add_co_u32 v0, vcc_lo, v20, v0
	v_add_co_ci_u32_e32 v1, vcc_lo, v21, v1, vcc_lo
	v_lshlrev_b64 v[8:9], 3, v[78:79]
	v_add_nc_u32_e32 v78, 0x104, v74
	s_waitcnt lgkmcnt(0)
	global_store_dwordx2 v[2:3], v[4:5], off
	global_store_dwordx2 v[0:1], v[6:7], off
	ds_read2_b64 v[0:3], v10 offset0:80 offset1:132
	ds_read2_b64 v[4:7], v17 offset0:56 offset1:108
	v_lshlrev_b64 v[10:11], 3, v[78:79]
	v_add_nc_u32_e32 v78, 0x138, v74
	v_add_co_u32 v8, vcc_lo, v20, v8
	v_add_co_ci_u32_e32 v9, vcc_lo, v21, v9, vcc_lo
	v_lshlrev_b64 v[12:13], 3, v[78:79]
	v_add_co_u32 v10, vcc_lo, v20, v10
	v_add_co_ci_u32_e32 v11, vcc_lo, v21, v11, vcc_lo
	v_add_nc_u32_e32 v78, 0x16c, v74
	v_add_co_u32 v12, vcc_lo, v20, v12
	v_add_co_ci_u32_e32 v13, vcc_lo, v21, v13, vcc_lo
	v_lshlrev_b64 v[14:15], 3, v[78:79]
	v_add_nc_u32_e32 v78, 0x1a0, v74
	s_waitcnt lgkmcnt(1)
	global_store_dwordx2 v[8:9], v[0:1], off
	global_store_dwordx2 v[10:11], v[2:3], off
	s_waitcnt lgkmcnt(0)
	global_store_dwordx2 v[12:13], v[4:5], off
	ds_read2_b64 v[0:3], v17 offset0:160 offset1:212
	v_add_nc_u32_e32 v17, 0x1400, v16
	v_lshlrev_b64 v[4:5], 3, v[78:79]
	v_add_nc_u32_e32 v78, 0x1d4, v74
	v_add_co_u32 v8, vcc_lo, v20, v14
	v_add_co_ci_u32_e32 v9, vcc_lo, v21, v15, vcc_lo
	v_lshlrev_b64 v[10:11], 3, v[78:79]
	v_add_co_u32 v4, vcc_lo, v20, v4
	v_add_co_ci_u32_e32 v5, vcc_lo, v21, v5, vcc_lo
	v_add_nc_u32_e32 v78, 0x208, v74
	v_add_co_u32 v10, vcc_lo, v20, v10
	v_add_nc_u32_e32 v14, 0x1000, v16
	v_add_co_ci_u32_e32 v11, vcc_lo, v21, v11, vcc_lo
	v_lshlrev_b64 v[12:13], 3, v[78:79]
	v_add_nc_u32_e32 v78, 0x23c, v74
	global_store_dwordx2 v[8:9], v[6:7], off
	s_waitcnt lgkmcnt(0)
	global_store_dwordx2 v[4:5], v[0:1], off
	global_store_dwordx2 v[10:11], v[2:3], off
	ds_read2_b64 v[0:3], v14 offset0:8 offset1:60
	ds_read2_b64 v[4:7], v14 offset0:112 offset1:164
	v_lshlrev_b64 v[8:9], 3, v[78:79]
	v_add_nc_u32_e32 v78, 0x270, v74
	v_add_co_u32 v10, vcc_lo, v20, v12
	v_add_co_ci_u32_e32 v11, vcc_lo, v21, v13, vcc_lo
	v_lshlrev_b64 v[12:13], 3, v[78:79]
	v_add_co_u32 v8, vcc_lo, v20, v8
	v_add_co_ci_u32_e32 v9, vcc_lo, v21, v9, vcc_lo
	v_add_nc_u32_e32 v78, 0x2a4, v74
	v_add_co_u32 v12, vcc_lo, v20, v12
	v_add_co_ci_u32_e32 v13, vcc_lo, v21, v13, vcc_lo
	v_lshlrev_b64 v[14:15], 3, v[78:79]
	v_add_nc_u32_e32 v78, 0x2d8, v74
	s_waitcnt lgkmcnt(1)
	global_store_dwordx2 v[10:11], v[0:1], off
	global_store_dwordx2 v[8:9], v[2:3], off
	s_waitcnt lgkmcnt(0)
	global_store_dwordx2 v[12:13], v[4:5], off
	ds_read2_b64 v[0:3], v17 offset0:88 offset1:140
	v_lshlrev_b64 v[4:5], 3, v[78:79]
	v_add_nc_u32_e32 v78, 0x30c, v74
	v_add_co_u32 v8, vcc_lo, v20, v14
	v_add_co_ci_u32_e32 v9, vcc_lo, v21, v15, vcc_lo
	v_lshlrev_b64 v[10:11], 3, v[78:79]
	v_add_co_u32 v4, vcc_lo, v20, v4
	v_add_co_ci_u32_e32 v5, vcc_lo, v21, v5, vcc_lo
	v_add_nc_u32_e32 v78, 0x340, v74
	v_add_co_u32 v10, vcc_lo, v20, v10
	v_add_nc_u32_e32 v14, 0x1800, v16
	v_add_co_ci_u32_e32 v11, vcc_lo, v21, v11, vcc_lo
	v_lshlrev_b64 v[12:13], 3, v[78:79]
	v_add_nc_u32_e32 v78, 0x374, v74
	global_store_dwordx2 v[8:9], v[6:7], off
	s_waitcnt lgkmcnt(0)
	global_store_dwordx2 v[4:5], v[0:1], off
	global_store_dwordx2 v[10:11], v[2:3], off
	ds_read2_b64 v[0:3], v14 offset0:64 offset1:116
	ds_read2_b64 v[4:7], v14 offset0:168 offset1:220
	v_lshlrev_b64 v[8:9], 3, v[78:79]
	v_add_nc_u32_e32 v78, 0x3a8, v74
	v_add_co_u32 v10, vcc_lo, v20, v12
	v_add_co_ci_u32_e32 v11, vcc_lo, v21, v13, vcc_lo
	v_lshlrev_b64 v[12:13], 3, v[78:79]
	v_add_nc_u32_e32 v78, 0x3dc, v74
	v_add_co_u32 v8, vcc_lo, v20, v8
	v_add_co_ci_u32_e32 v9, vcc_lo, v21, v9, vcc_lo
	v_add_co_u32 v12, vcc_lo, v20, v12
	v_lshlrev_b64 v[14:15], 3, v[78:79]
	v_add_nc_u32_e32 v78, 0x410, v74
	v_add_co_ci_u32_e32 v13, vcc_lo, v21, v13, vcc_lo
	s_waitcnt lgkmcnt(1)
	global_store_dwordx2 v[10:11], v[0:1], off
	global_store_dwordx2 v[8:9], v[2:3], off
	s_waitcnt lgkmcnt(0)
	global_store_dwordx2 v[12:13], v[4:5], off
	v_add_nc_u32_e32 v8, 0x2000, v16
	v_lshlrev_b64 v[4:5], 3, v[78:79]
	v_add_nc_u32_e32 v78, 0x444, v74
	v_add_co_u32 v12, vcc_lo, v20, v14
	v_add_co_ci_u32_e32 v13, vcc_lo, v21, v15, vcc_lo
	ds_read2_b64 v[0:3], v8 offset0:16 offset1:68
	v_lshlrev_b64 v[14:15], 3, v[78:79]
	v_add_nc_u32_e32 v78, 0x478, v74
	ds_read2_b64 v[8:11], v8 offset0:120 offset1:172
	v_add_co_u32 v4, vcc_lo, v20, v4
	v_add_co_ci_u32_e32 v5, vcc_lo, v21, v5, vcc_lo
	v_lshlrev_b64 v[16:17], 3, v[78:79]
	v_add_nc_u32_e32 v78, 0x4ac, v74
	v_add_co_u32 v14, vcc_lo, v20, v14
	v_add_co_ci_u32_e32 v15, vcc_lo, v21, v15, vcc_lo
	v_lshlrev_b64 v[18:19], 3, v[78:79]
	v_add_co_u32 v16, vcc_lo, v20, v16
	v_add_co_ci_u32_e32 v17, vcc_lo, v21, v17, vcc_lo
	v_add_co_u32 v18, vcc_lo, v20, v18
	v_add_co_ci_u32_e32 v19, vcc_lo, v21, v19, vcc_lo
	global_store_dwordx2 v[12:13], v[6:7], off
	s_waitcnt lgkmcnt(1)
	global_store_dwordx2 v[4:5], v[0:1], off
	global_store_dwordx2 v[14:15], v[2:3], off
	s_waitcnt lgkmcnt(0)
	global_store_dwordx2 v[16:17], v[8:9], off
	global_store_dwordx2 v[18:19], v[10:11], off
.LBB0_25:
	s_endpgm
	.section	.rodata,"a",@progbits
	.p2align	6, 0x0
	.amdhsa_kernel fft_rtc_back_len1248_factors_2_2_13_2_3_2_2_wgs_52_tpt_52_halfLds_sp_op_CI_CI_unitstride_sbrr_C2R_dirReg
		.amdhsa_group_segment_fixed_size 0
		.amdhsa_private_segment_fixed_size 0
		.amdhsa_kernarg_size 104
		.amdhsa_user_sgpr_count 6
		.amdhsa_user_sgpr_private_segment_buffer 1
		.amdhsa_user_sgpr_dispatch_ptr 0
		.amdhsa_user_sgpr_queue_ptr 0
		.amdhsa_user_sgpr_kernarg_segment_ptr 1
		.amdhsa_user_sgpr_dispatch_id 0
		.amdhsa_user_sgpr_flat_scratch_init 0
		.amdhsa_user_sgpr_private_segment_size 0
		.amdhsa_wavefront_size32 1
		.amdhsa_uses_dynamic_stack 0
		.amdhsa_system_sgpr_private_segment_wavefront_offset 0
		.amdhsa_system_sgpr_workgroup_id_x 1
		.amdhsa_system_sgpr_workgroup_id_y 0
		.amdhsa_system_sgpr_workgroup_id_z 0
		.amdhsa_system_sgpr_workgroup_info 0
		.amdhsa_system_vgpr_workitem_id 0
		.amdhsa_next_free_vgpr 222
		.amdhsa_next_free_sgpr 27
		.amdhsa_reserve_vcc 1
		.amdhsa_reserve_flat_scratch 0
		.amdhsa_float_round_mode_32 0
		.amdhsa_float_round_mode_16_64 0
		.amdhsa_float_denorm_mode_32 3
		.amdhsa_float_denorm_mode_16_64 3
		.amdhsa_dx10_clamp 1
		.amdhsa_ieee_mode 1
		.amdhsa_fp16_overflow 0
		.amdhsa_workgroup_processor_mode 1
		.amdhsa_memory_ordered 1
		.amdhsa_forward_progress 0
		.amdhsa_shared_vgpr_count 0
		.amdhsa_exception_fp_ieee_invalid_op 0
		.amdhsa_exception_fp_denorm_src 0
		.amdhsa_exception_fp_ieee_div_zero 0
		.amdhsa_exception_fp_ieee_overflow 0
		.amdhsa_exception_fp_ieee_underflow 0
		.amdhsa_exception_fp_ieee_inexact 0
		.amdhsa_exception_int_div_zero 0
	.end_amdhsa_kernel
	.text
.Lfunc_end0:
	.size	fft_rtc_back_len1248_factors_2_2_13_2_3_2_2_wgs_52_tpt_52_halfLds_sp_op_CI_CI_unitstride_sbrr_C2R_dirReg, .Lfunc_end0-fft_rtc_back_len1248_factors_2_2_13_2_3_2_2_wgs_52_tpt_52_halfLds_sp_op_CI_CI_unitstride_sbrr_C2R_dirReg
                                        ; -- End function
	.section	.AMDGPU.csdata,"",@progbits
; Kernel info:
; codeLenInByte = 17448
; NumSgprs: 29
; NumVgprs: 222
; ScratchSize: 0
; MemoryBound: 0
; FloatMode: 240
; IeeeMode: 1
; LDSByteSize: 0 bytes/workgroup (compile time only)
; SGPRBlocks: 3
; VGPRBlocks: 27
; NumSGPRsForWavesPerEU: 29
; NumVGPRsForWavesPerEU: 222
; Occupancy: 4
; WaveLimiterHint : 1
; COMPUTE_PGM_RSRC2:SCRATCH_EN: 0
; COMPUTE_PGM_RSRC2:USER_SGPR: 6
; COMPUTE_PGM_RSRC2:TRAP_HANDLER: 0
; COMPUTE_PGM_RSRC2:TGID_X_EN: 1
; COMPUTE_PGM_RSRC2:TGID_Y_EN: 0
; COMPUTE_PGM_RSRC2:TGID_Z_EN: 0
; COMPUTE_PGM_RSRC2:TIDIG_COMP_CNT: 0
	.text
	.p2alignl 6, 3214868480
	.fill 48, 4, 3214868480
	.type	__hip_cuid_d2976d21114d50c0,@object ; @__hip_cuid_d2976d21114d50c0
	.section	.bss,"aw",@nobits
	.globl	__hip_cuid_d2976d21114d50c0
__hip_cuid_d2976d21114d50c0:
	.byte	0                               ; 0x0
	.size	__hip_cuid_d2976d21114d50c0, 1

	.ident	"AMD clang version 19.0.0git (https://github.com/RadeonOpenCompute/llvm-project roc-6.4.0 25133 c7fe45cf4b819c5991fe208aaa96edf142730f1d)"
	.section	".note.GNU-stack","",@progbits
	.addrsig
	.addrsig_sym __hip_cuid_d2976d21114d50c0
	.amdgpu_metadata
---
amdhsa.kernels:
  - .args:
      - .actual_access:  read_only
        .address_space:  global
        .offset:         0
        .size:           8
        .value_kind:     global_buffer
      - .offset:         8
        .size:           8
        .value_kind:     by_value
      - .actual_access:  read_only
        .address_space:  global
        .offset:         16
        .size:           8
        .value_kind:     global_buffer
      - .actual_access:  read_only
        .address_space:  global
        .offset:         24
        .size:           8
        .value_kind:     global_buffer
      - .actual_access:  read_only
        .address_space:  global
        .offset:         32
        .size:           8
        .value_kind:     global_buffer
      - .offset:         40
        .size:           8
        .value_kind:     by_value
      - .actual_access:  read_only
        .address_space:  global
        .offset:         48
        .size:           8
        .value_kind:     global_buffer
      - .actual_access:  read_only
        .address_space:  global
        .offset:         56
        .size:           8
        .value_kind:     global_buffer
      - .offset:         64
        .size:           4
        .value_kind:     by_value
      - .actual_access:  read_only
        .address_space:  global
        .offset:         72
        .size:           8
        .value_kind:     global_buffer
      - .actual_access:  read_only
        .address_space:  global
        .offset:         80
        .size:           8
        .value_kind:     global_buffer
      - .actual_access:  read_only
        .address_space:  global
        .offset:         88
        .size:           8
        .value_kind:     global_buffer
      - .actual_access:  write_only
        .address_space:  global
        .offset:         96
        .size:           8
        .value_kind:     global_buffer
    .group_segment_fixed_size: 0
    .kernarg_segment_align: 8
    .kernarg_segment_size: 104
    .language:       OpenCL C
    .language_version:
      - 2
      - 0
    .max_flat_workgroup_size: 52
    .name:           fft_rtc_back_len1248_factors_2_2_13_2_3_2_2_wgs_52_tpt_52_halfLds_sp_op_CI_CI_unitstride_sbrr_C2R_dirReg
    .private_segment_fixed_size: 0
    .sgpr_count:     29
    .sgpr_spill_count: 0
    .symbol:         fft_rtc_back_len1248_factors_2_2_13_2_3_2_2_wgs_52_tpt_52_halfLds_sp_op_CI_CI_unitstride_sbrr_C2R_dirReg.kd
    .uniform_work_group_size: 1
    .uses_dynamic_stack: false
    .vgpr_count:     222
    .vgpr_spill_count: 0
    .wavefront_size: 32
    .workgroup_processor_mode: 1
amdhsa.target:   amdgcn-amd-amdhsa--gfx1030
amdhsa.version:
  - 1
  - 2
...

	.end_amdgpu_metadata
